;; amdgpu-corpus repo=ROCm/rccl kind=compiled arch=gfx1250 opt=O3
	.amdgcn_target "amdgcn-amd-amdhsa--gfx1250"
	.amdhsa_code_object_version 6
	.text
	.p2align	2                               ; -- Begin function __ockl_fprintf_append_string_n
	.type	__ockl_fprintf_append_string_n,@function
__ockl_fprintf_append_string_n:         ; @__ockl_fprintf_append_string_n
; %bb.0:
	s_wait_loadcnt_dscnt 0x0
	s_wait_kmcnt 0x0
	v_or_b32_e32 v2, 2, v0
	v_cmp_eq_u32_e32 vcc_lo, 0, v6
	v_mbcnt_lo_u32_b32 v30, -1, 0
	s_get_pc_i64 s[0:1]
	s_add_nc_u64 s[0:1], s[0:1], .str.3@rel64+4
	s_mov_b32 s6, 0
	s_cmp_lg_u64 s[0:1], 0
	v_cndmask_b32_e32 v3, v2, v0, vcc_lo
	s_cbranch_scc0 .LBB0_113
; %bb.1:
	s_load_b64 s[2:3], s[8:9], 0x50
	s_delay_alu instid0(VALU_DEP_1) | instskip(SKIP_3) | instid1(VALU_DEP_4)
	v_dual_mov_b32 v7, 0 :: v_dual_bitop2_b32 v0, -3, v3 bitop3:0x40
	v_mov_b64_e32 v[8:9], 0x100000002
	v_mov_b64_e32 v[32:33], s[0:1]
	v_and_b32_e32 v2, 2, v3
	v_mov_b64_e32 v[10:11], v[0:1]
	s_mov_b32 s7, 0
	s_branch .LBB0_3
.LBB0_2:                                ;   in Loop: Header=BB0_3 Depth=1
	s_or_b32 exec_lo, exec_lo, s10
	v_sub_nc_u64_e32 v[4:5], v[4:5], v[34:35]
	v_add_nc_u64_e32 v[32:33], v[32:33], v[34:35]
	s_delay_alu instid0(VALU_DEP_2) | instskip(SKIP_1) | instid1(SALU_CYCLE_1)
	v_cmp_eq_u64_e32 vcc_lo, 0, v[4:5]
	s_or_b32 s7, vcc_lo, s7
	s_and_not1_b32 exec_lo, exec_lo, s7
	s_cbranch_execz .LBB0_85
.LBB0_3:                                ; =>This Loop Header: Depth=1
                                        ;     Child Loop BB0_6 Depth 2
                                        ;     Child Loop BB0_14 Depth 2
	;; [unrolled: 1-line block ×11, first 2 shown]
	v_min_u64 v[34:35], v[4:5], 56
	s_delay_alu instid0(VALU_DEP_3)
	v_add_nc_u64_e32 v[16:17], 8, v[32:33]
	s_mov_b32 s0, exec_lo
	v_cmpx_gt_u64_e32 8, v[4:5]
	s_xor_b32 s4, exec_lo, s0
	s_cbranch_execz .LBB0_9
; %bb.4:                                ;   in Loop: Header=BB0_3 Depth=1
	s_wait_loadcnt 0x0
	v_mov_b64_e32 v[12:13], 0
	s_mov_b32 s5, exec_lo
	v_cmpx_ne_u64_e32 0, v[4:5]
	s_cbranch_execz .LBB0_8
; %bb.5:                                ;   in Loop: Header=BB0_3 Depth=1
	v_mov_b64_e32 v[12:13], 0
	v_mov_b64_e32 v[14:15], v[32:33]
	v_lshlrev_b32_e32 v0, 3, v34
	s_mov_b64 s[0:1], 0
	s_mov_b32 s10, 0
.LBB0_6:                                ;   Parent Loop BB0_3 Depth=1
                                        ; =>  This Inner Loop Header: Depth=2
	global_load_u8 v6, v[14:15], off
	v_mov_b32_e32 v17, s6
	s_wait_xcnt 0x0
	v_add_nc_u64_e32 v[14:15], 1, v[14:15]
	s_wait_loadcnt 0x0
	v_and_b32_e32 v16, 0xffff, v6
	s_delay_alu instid0(VALU_DEP_1) | instskip(SKIP_1) | instid1(SALU_CYCLE_1)
	v_lshlrev_b64_e32 v[16:17], s0, v[16:17]
	s_add_nc_u64 s[0:1], s[0:1], 8
	v_cmp_eq_u32_e32 vcc_lo, s0, v0
	s_delay_alu instid0(VALU_DEP_2) | instskip(NEXT) | instid1(VALU_DEP_3)
	v_or_b32_e32 v13, v17, v13
	v_or_b32_e32 v12, v16, v12
	s_or_b32 s10, vcc_lo, s10
	s_delay_alu instid0(SALU_CYCLE_1)
	s_and_not1_b32 exec_lo, exec_lo, s10
	s_cbranch_execnz .LBB0_6
; %bb.7:                                ;   in Loop: Header=BB0_3 Depth=1
	s_or_b32 exec_lo, exec_lo, s10
.LBB0_8:                                ;   in Loop: Header=BB0_3 Depth=1
	s_delay_alu instid0(SALU_CYCLE_1)
	s_or_b32 exec_lo, exec_lo, s5
	v_mov_b64_e32 v[16:17], v[32:33]
.LBB0_9:                                ;   in Loop: Header=BB0_3 Depth=1
	s_or_saveexec_b32 s0, s4
	v_mov_b32_e32 v0, 0
	s_xor_b32 exec_lo, exec_lo, s0
	s_cbranch_execz .LBB0_11
; %bb.10:                               ;   in Loop: Header=BB0_3 Depth=1
	s_wait_loadcnt 0x0
	global_load_b64 v[12:13], v[32:33], off
	v_add_nc_u32_e32 v0, -8, v34
.LBB0_11:                               ;   in Loop: Header=BB0_3 Depth=1
	s_wait_xcnt 0x0
	s_or_b32 exec_lo, exec_lo, s0
	v_add_nc_u64_e32 v[18:19], 8, v[16:17]
                                        ; implicit-def: $vgpr14_vgpr15
	s_mov_b32 s0, exec_lo
	v_cmpx_gt_u32_e32 8, v0
	s_xor_b32 s10, exec_lo, s0
	s_cbranch_execz .LBB0_17
; %bb.12:                               ;   in Loop: Header=BB0_3 Depth=1
	v_mov_b64_e32 v[14:15], 0
	s_mov_b32 s11, exec_lo
	v_cmpx_ne_u32_e32 0, v0
	s_cbranch_execz .LBB0_16
; %bb.13:                               ;   in Loop: Header=BB0_3 Depth=1
	v_mov_b64_e32 v[14:15], 0
	s_mov_b64 s[0:1], 0
	s_mov_b32 s12, 0
	s_mov_b64 s[4:5], 0
.LBB0_14:                               ;   Parent Loop BB0_3 Depth=1
                                        ; =>  This Inner Loop Header: Depth=2
	s_delay_alu instid0(SALU_CYCLE_1) | instskip(SKIP_1) | instid1(SALU_CYCLE_1)
	v_add_nc_u64_e32 v[18:19], s[4:5], v[16:17]
	s_add_nc_u64 s[4:5], s[4:5], 1
	v_cmp_eq_u32_e32 vcc_lo, s4, v0
	global_load_u8 v6, v[18:19], off
	s_wait_xcnt 0x0
	v_mov_b32_e32 v19, s6
	s_or_b32 s12, vcc_lo, s12
	s_wait_loadcnt 0x0
	v_and_b32_e32 v18, 0xffff, v6
	s_delay_alu instid0(VALU_DEP_1) | instskip(SKIP_1) | instid1(VALU_DEP_1)
	v_lshlrev_b64_e32 v[18:19], s0, v[18:19]
	s_add_nc_u64 s[0:1], s[0:1], 8
	v_or_b32_e32 v15, v19, v15
	s_delay_alu instid0(VALU_DEP_2)
	v_or_b32_e32 v14, v18, v14
	s_and_not1_b32 exec_lo, exec_lo, s12
	s_cbranch_execnz .LBB0_14
; %bb.15:                               ;   in Loop: Header=BB0_3 Depth=1
	s_or_b32 exec_lo, exec_lo, s12
.LBB0_16:                               ;   in Loop: Header=BB0_3 Depth=1
	s_delay_alu instid0(SALU_CYCLE_1)
	s_or_b32 exec_lo, exec_lo, s11
	v_mov_b64_e32 v[18:19], v[16:17]
                                        ; implicit-def: $vgpr0
.LBB0_17:                               ;   in Loop: Header=BB0_3 Depth=1
	s_or_saveexec_b32 s0, s10
	v_mov_b32_e32 v6, 0
	s_xor_b32 exec_lo, exec_lo, s0
	s_cbranch_execz .LBB0_19
; %bb.18:                               ;   in Loop: Header=BB0_3 Depth=1
	global_load_b64 v[14:15], v[16:17], off
	v_add_nc_u32_e32 v6, -8, v0
.LBB0_19:                               ;   in Loop: Header=BB0_3 Depth=1
	s_wait_xcnt 0x0
	s_or_b32 exec_lo, exec_lo, s0
	v_add_nc_u64_e32 v[20:21], 8, v[18:19]
	s_mov_b32 s0, exec_lo
	v_cmpx_gt_u32_e32 8, v6
	s_xor_b32 s10, exec_lo, s0
	s_cbranch_execz .LBB0_25
; %bb.20:                               ;   in Loop: Header=BB0_3 Depth=1
	v_mov_b64_e32 v[16:17], 0
	s_mov_b32 s11, exec_lo
	v_cmpx_ne_u32_e32 0, v6
	s_cbranch_execz .LBB0_24
; %bb.21:                               ;   in Loop: Header=BB0_3 Depth=1
	v_mov_b64_e32 v[16:17], 0
	s_mov_b64 s[0:1], 0
	s_mov_b32 s12, 0
	s_mov_b64 s[4:5], 0
.LBB0_22:                               ;   Parent Loop BB0_3 Depth=1
                                        ; =>  This Inner Loop Header: Depth=2
	s_delay_alu instid0(SALU_CYCLE_1) | instskip(SKIP_1) | instid1(SALU_CYCLE_1)
	v_add_nc_u64_e32 v[20:21], s[4:5], v[18:19]
	s_add_nc_u64 s[4:5], s[4:5], 1
	v_cmp_eq_u32_e32 vcc_lo, s4, v6
	global_load_u8 v0, v[20:21], off
	s_wait_xcnt 0x0
	v_mov_b32_e32 v21, s6
	s_or_b32 s12, vcc_lo, s12
	s_wait_loadcnt 0x0
	v_and_b32_e32 v20, 0xffff, v0
	s_delay_alu instid0(VALU_DEP_1) | instskip(SKIP_1) | instid1(VALU_DEP_1)
	v_lshlrev_b64_e32 v[20:21], s0, v[20:21]
	s_add_nc_u64 s[0:1], s[0:1], 8
	v_or_b32_e32 v17, v21, v17
	s_delay_alu instid0(VALU_DEP_2)
	v_or_b32_e32 v16, v20, v16
	s_and_not1_b32 exec_lo, exec_lo, s12
	s_cbranch_execnz .LBB0_22
; %bb.23:                               ;   in Loop: Header=BB0_3 Depth=1
	s_or_b32 exec_lo, exec_lo, s12
.LBB0_24:                               ;   in Loop: Header=BB0_3 Depth=1
	s_delay_alu instid0(SALU_CYCLE_1)
	s_or_b32 exec_lo, exec_lo, s11
	v_mov_b64_e32 v[20:21], v[18:19]
                                        ; implicit-def: $vgpr6
.LBB0_25:                               ;   in Loop: Header=BB0_3 Depth=1
	s_or_saveexec_b32 s0, s10
	v_mov_b32_e32 v0, 0
	s_xor_b32 exec_lo, exec_lo, s0
	s_cbranch_execz .LBB0_27
; %bb.26:                               ;   in Loop: Header=BB0_3 Depth=1
	global_load_b64 v[16:17], v[18:19], off
	v_add_nc_u32_e32 v0, -8, v6
.LBB0_27:                               ;   in Loop: Header=BB0_3 Depth=1
	s_wait_xcnt 0x0
	s_or_b32 exec_lo, exec_lo, s0
	v_add_nc_u64_e32 v[22:23], 8, v[20:21]
                                        ; implicit-def: $vgpr18_vgpr19
	s_mov_b32 s0, exec_lo
	v_cmpx_gt_u32_e32 8, v0
	s_xor_b32 s10, exec_lo, s0
	s_cbranch_execz .LBB0_33
; %bb.28:                               ;   in Loop: Header=BB0_3 Depth=1
	v_mov_b64_e32 v[18:19], 0
	s_mov_b32 s11, exec_lo
	v_cmpx_ne_u32_e32 0, v0
	s_cbranch_execz .LBB0_32
; %bb.29:                               ;   in Loop: Header=BB0_3 Depth=1
	v_mov_b64_e32 v[18:19], 0
	s_mov_b64 s[0:1], 0
	s_mov_b32 s12, 0
	s_mov_b64 s[4:5], 0
.LBB0_30:                               ;   Parent Loop BB0_3 Depth=1
                                        ; =>  This Inner Loop Header: Depth=2
	s_delay_alu instid0(SALU_CYCLE_1) | instskip(SKIP_1) | instid1(SALU_CYCLE_1)
	v_add_nc_u64_e32 v[22:23], s[4:5], v[20:21]
	s_add_nc_u64 s[4:5], s[4:5], 1
	v_cmp_eq_u32_e32 vcc_lo, s4, v0
	global_load_u8 v6, v[22:23], off
	s_wait_xcnt 0x0
	v_mov_b32_e32 v23, s6
	s_or_b32 s12, vcc_lo, s12
	s_wait_loadcnt 0x0
	v_and_b32_e32 v22, 0xffff, v6
	s_delay_alu instid0(VALU_DEP_1) | instskip(SKIP_1) | instid1(VALU_DEP_1)
	v_lshlrev_b64_e32 v[22:23], s0, v[22:23]
	s_add_nc_u64 s[0:1], s[0:1], 8
	v_or_b32_e32 v19, v23, v19
	s_delay_alu instid0(VALU_DEP_2)
	v_or_b32_e32 v18, v22, v18
	s_and_not1_b32 exec_lo, exec_lo, s12
	s_cbranch_execnz .LBB0_30
; %bb.31:                               ;   in Loop: Header=BB0_3 Depth=1
	s_or_b32 exec_lo, exec_lo, s12
.LBB0_32:                               ;   in Loop: Header=BB0_3 Depth=1
	s_delay_alu instid0(SALU_CYCLE_1)
	s_or_b32 exec_lo, exec_lo, s11
	v_mov_b64_e32 v[22:23], v[20:21]
                                        ; implicit-def: $vgpr0
.LBB0_33:                               ;   in Loop: Header=BB0_3 Depth=1
	s_or_saveexec_b32 s0, s10
	v_mov_b32_e32 v6, 0
	s_xor_b32 exec_lo, exec_lo, s0
	s_cbranch_execz .LBB0_35
; %bb.34:                               ;   in Loop: Header=BB0_3 Depth=1
	global_load_b64 v[18:19], v[20:21], off
	v_add_nc_u32_e32 v6, -8, v0
.LBB0_35:                               ;   in Loop: Header=BB0_3 Depth=1
	s_wait_xcnt 0x0
	s_or_b32 exec_lo, exec_lo, s0
	v_add_nc_u64_e32 v[24:25], 8, v[22:23]
	s_mov_b32 s0, exec_lo
	v_cmpx_gt_u32_e32 8, v6
	s_xor_b32 s10, exec_lo, s0
	s_cbranch_execz .LBB0_41
; %bb.36:                               ;   in Loop: Header=BB0_3 Depth=1
	v_mov_b64_e32 v[20:21], 0
	s_mov_b32 s11, exec_lo
	v_cmpx_ne_u32_e32 0, v6
	s_cbranch_execz .LBB0_40
; %bb.37:                               ;   in Loop: Header=BB0_3 Depth=1
	v_mov_b64_e32 v[20:21], 0
	s_mov_b64 s[0:1], 0
	s_mov_b32 s12, 0
	s_mov_b64 s[4:5], 0
.LBB0_38:                               ;   Parent Loop BB0_3 Depth=1
                                        ; =>  This Inner Loop Header: Depth=2
	s_delay_alu instid0(SALU_CYCLE_1) | instskip(SKIP_1) | instid1(SALU_CYCLE_1)
	v_add_nc_u64_e32 v[24:25], s[4:5], v[22:23]
	s_add_nc_u64 s[4:5], s[4:5], 1
	v_cmp_eq_u32_e32 vcc_lo, s4, v6
	global_load_u8 v0, v[24:25], off
	s_wait_xcnt 0x0
	v_mov_b32_e32 v25, s6
	s_or_b32 s12, vcc_lo, s12
	s_wait_loadcnt 0x0
	v_and_b32_e32 v24, 0xffff, v0
	s_delay_alu instid0(VALU_DEP_1) | instskip(SKIP_1) | instid1(VALU_DEP_1)
	v_lshlrev_b64_e32 v[24:25], s0, v[24:25]
	s_add_nc_u64 s[0:1], s[0:1], 8
	v_or_b32_e32 v21, v25, v21
	s_delay_alu instid0(VALU_DEP_2)
	v_or_b32_e32 v20, v24, v20
	s_and_not1_b32 exec_lo, exec_lo, s12
	s_cbranch_execnz .LBB0_38
; %bb.39:                               ;   in Loop: Header=BB0_3 Depth=1
	s_or_b32 exec_lo, exec_lo, s12
.LBB0_40:                               ;   in Loop: Header=BB0_3 Depth=1
	s_delay_alu instid0(SALU_CYCLE_1)
	s_or_b32 exec_lo, exec_lo, s11
	v_mov_b64_e32 v[24:25], v[22:23]
                                        ; implicit-def: $vgpr6
.LBB0_41:                               ;   in Loop: Header=BB0_3 Depth=1
	s_or_saveexec_b32 s0, s10
	v_mov_b32_e32 v0, 0
	s_xor_b32 exec_lo, exec_lo, s0
	s_cbranch_execz .LBB0_43
; %bb.42:                               ;   in Loop: Header=BB0_3 Depth=1
	global_load_b64 v[20:21], v[22:23], off
	v_add_nc_u32_e32 v0, -8, v6
.LBB0_43:                               ;   in Loop: Header=BB0_3 Depth=1
	s_wait_xcnt 0x0
	s_or_b32 exec_lo, exec_lo, s0
	v_add_nc_u64_e32 v[26:27], 8, v[24:25]
                                        ; implicit-def: $vgpr22_vgpr23
	s_mov_b32 s0, exec_lo
	v_cmpx_gt_u32_e32 8, v0
	s_xor_b32 s10, exec_lo, s0
	s_cbranch_execz .LBB0_49
; %bb.44:                               ;   in Loop: Header=BB0_3 Depth=1
	v_mov_b64_e32 v[22:23], 0
	s_mov_b32 s11, exec_lo
	v_cmpx_ne_u32_e32 0, v0
	s_cbranch_execz .LBB0_48
; %bb.45:                               ;   in Loop: Header=BB0_3 Depth=1
	v_mov_b64_e32 v[22:23], 0
	s_mov_b64 s[0:1], 0
	s_mov_b32 s12, 0
	s_mov_b64 s[4:5], 0
.LBB0_46:                               ;   Parent Loop BB0_3 Depth=1
                                        ; =>  This Inner Loop Header: Depth=2
	s_delay_alu instid0(SALU_CYCLE_1) | instskip(SKIP_1) | instid1(SALU_CYCLE_1)
	v_add_nc_u64_e32 v[26:27], s[4:5], v[24:25]
	s_add_nc_u64 s[4:5], s[4:5], 1
	v_cmp_eq_u32_e32 vcc_lo, s4, v0
	global_load_u8 v6, v[26:27], off
	s_wait_xcnt 0x0
	v_mov_b32_e32 v27, s6
	s_or_b32 s12, vcc_lo, s12
	s_wait_loadcnt 0x0
	v_and_b32_e32 v26, 0xffff, v6
	s_delay_alu instid0(VALU_DEP_1) | instskip(SKIP_1) | instid1(VALU_DEP_1)
	v_lshlrev_b64_e32 v[26:27], s0, v[26:27]
	s_add_nc_u64 s[0:1], s[0:1], 8
	v_or_b32_e32 v23, v27, v23
	s_delay_alu instid0(VALU_DEP_2)
	v_or_b32_e32 v22, v26, v22
	s_and_not1_b32 exec_lo, exec_lo, s12
	s_cbranch_execnz .LBB0_46
; %bb.47:                               ;   in Loop: Header=BB0_3 Depth=1
	s_or_b32 exec_lo, exec_lo, s12
.LBB0_48:                               ;   in Loop: Header=BB0_3 Depth=1
	s_delay_alu instid0(SALU_CYCLE_1)
	s_or_b32 exec_lo, exec_lo, s11
	v_mov_b64_e32 v[26:27], v[24:25]
                                        ; implicit-def: $vgpr0
.LBB0_49:                               ;   in Loop: Header=BB0_3 Depth=1
	s_or_saveexec_b32 s0, s10
	v_mov_b32_e32 v6, 0
	s_xor_b32 exec_lo, exec_lo, s0
	s_cbranch_execz .LBB0_51
; %bb.50:                               ;   in Loop: Header=BB0_3 Depth=1
	global_load_b64 v[22:23], v[24:25], off
	v_add_nc_u32_e32 v6, -8, v0
.LBB0_51:                               ;   in Loop: Header=BB0_3 Depth=1
	s_wait_xcnt 0x0
	s_or_b32 exec_lo, exec_lo, s0
	s_delay_alu instid0(SALU_CYCLE_1) | instskip(NEXT) | instid1(VALU_DEP_1)
	s_mov_b32 s0, exec_lo
	v_cmpx_gt_u32_e32 8, v6
	s_xor_b32 s4, exec_lo, s0
	s_cbranch_execz .LBB0_57
; %bb.52:                               ;   in Loop: Header=BB0_3 Depth=1
	v_mov_b64_e32 v[24:25], 0
	s_mov_b32 s5, exec_lo
	v_cmpx_ne_u32_e32 0, v6
	s_cbranch_execz .LBB0_56
; %bb.53:                               ;   in Loop: Header=BB0_3 Depth=1
	v_mov_b64_e32 v[24:25], 0
	s_mov_b64 s[0:1], 0
	s_mov_b32 s10, 0
.LBB0_54:                               ;   Parent Loop BB0_3 Depth=1
                                        ; =>  This Inner Loop Header: Depth=2
	global_load_u8 v0, v[26:27], off
	v_dual_mov_b32 v29, s6 :: v_dual_add_nc_u32 v6, -1, v6
	s_wait_xcnt 0x0
	v_add_nc_u64_e32 v[26:27], 1, v[26:27]
	s_delay_alu instid0(VALU_DEP_2) | instskip(SKIP_3) | instid1(VALU_DEP_1)
	v_cmp_eq_u32_e32 vcc_lo, 0, v6
	s_or_b32 s10, vcc_lo, s10
	s_wait_loadcnt 0x0
	v_and_b32_e32 v28, 0xffff, v0
	v_lshlrev_b64_e32 v[28:29], s0, v[28:29]
	s_add_nc_u64 s[0:1], s[0:1], 8
	s_delay_alu instid0(VALU_DEP_1) | instskip(NEXT) | instid1(VALU_DEP_2)
	v_or_b32_e32 v25, v29, v25
	v_or_b32_e32 v24, v28, v24
	s_and_not1_b32 exec_lo, exec_lo, s10
	s_cbranch_execnz .LBB0_54
; %bb.55:                               ;   in Loop: Header=BB0_3 Depth=1
	s_or_b32 exec_lo, exec_lo, s10
.LBB0_56:                               ;   in Loop: Header=BB0_3 Depth=1
	s_delay_alu instid0(SALU_CYCLE_1)
	s_or_b32 exec_lo, exec_lo, s5
                                        ; implicit-def: $vgpr26_vgpr27
.LBB0_57:                               ;   in Loop: Header=BB0_3 Depth=1
	s_and_not1_saveexec_b32 s0, s4
	s_cbranch_execz .LBB0_59
; %bb.58:                               ;   in Loop: Header=BB0_3 Depth=1
	global_load_b64 v[24:25], v[26:27], off
.LBB0_59:                               ;   in Loop: Header=BB0_3 Depth=1
	s_wait_xcnt 0x0
	s_or_b32 exec_lo, exec_lo, s0
	v_readfirstlane_b32 s0, v30
	v_mov_b64_e32 v[36:37], 0
	s_delay_alu instid0(VALU_DEP_2)
	v_cmp_eq_u32_e64 s0, s0, v30
	s_and_saveexec_b32 s1, s0
	s_cbranch_execz .LBB0_65
; %bb.60:                               ;   in Loop: Header=BB0_3 Depth=1
	s_wait_kmcnt 0x0
	global_load_b64 v[28:29], v7, s[2:3] offset:24 scope:SCOPE_SYS
	s_wait_loadcnt 0x0
	global_inv scope:SCOPE_SYS
	s_clause 0x1
	global_load_b64 v[26:27], v7, s[2:3] offset:40
	global_load_b64 v[36:37], v7, s[2:3]
	s_mov_b32 s4, exec_lo
	s_wait_loadcnt 0x1
	v_and_b32_e32 v26, v26, v28
	v_and_b32_e32 v27, v27, v29
	s_delay_alu instid0(VALU_DEP_1) | instskip(SKIP_1) | instid1(VALU_DEP_1)
	v_mul_u64_e32 v[26:27], 24, v[26:27]
	s_wait_loadcnt 0x0
	v_add_nc_u64_e32 v[26:27], v[36:37], v[26:27]
	global_load_b64 v[26:27], v[26:27], off scope:SCOPE_SYS
	s_wait_xcnt 0x0
	s_wait_loadcnt 0x0
	global_atomic_cmpswap_b64 v[36:37], v7, v[26:29], s[2:3] offset:24 th:TH_ATOMIC_RETURN scope:SCOPE_SYS
	s_wait_loadcnt 0x0
	global_inv scope:SCOPE_SYS
	s_wait_xcnt 0x0
	v_cmpx_ne_u64_e64 v[36:37], v[28:29]
	s_cbranch_execz .LBB0_64
; %bb.61:                               ;   in Loop: Header=BB0_3 Depth=1
	s_mov_b32 s5, 0
.LBB0_62:                               ;   Parent Loop BB0_3 Depth=1
                                        ; =>  This Inner Loop Header: Depth=2
	s_sleep 1
	s_clause 0x1
	global_load_b64 v[26:27], v7, s[2:3] offset:40
	global_load_b64 v[38:39], v7, s[2:3]
	v_mov_b64_e32 v[28:29], v[36:37]
	s_wait_loadcnt 0x1
	s_delay_alu instid0(VALU_DEP_1) | instskip(SKIP_1) | instid1(VALU_DEP_1)
	v_and_b32_e32 v0, v26, v28
	s_wait_loadcnt 0x0
	v_mad_nc_u64_u32 v[36:37], v0, 24, v[38:39]
	s_delay_alu instid0(VALU_DEP_3) | instskip(NEXT) | instid1(VALU_DEP_1)
	v_and_b32_e32 v0, v27, v29
	v_mad_u32 v37, v0, 24, v37
	global_load_b64 v[26:27], v[36:37], off scope:SCOPE_SYS
	s_wait_xcnt 0x0
	s_wait_loadcnt 0x0
	global_atomic_cmpswap_b64 v[36:37], v7, v[26:29], s[2:3] offset:24 th:TH_ATOMIC_RETURN scope:SCOPE_SYS
	s_wait_loadcnt 0x0
	global_inv scope:SCOPE_SYS
	v_cmp_eq_u64_e32 vcc_lo, v[36:37], v[28:29]
	s_or_b32 s5, vcc_lo, s5
	s_wait_xcnt 0x0
	s_and_not1_b32 exec_lo, exec_lo, s5
	s_cbranch_execnz .LBB0_62
; %bb.63:                               ;   in Loop: Header=BB0_3 Depth=1
	s_or_b32 exec_lo, exec_lo, s5
.LBB0_64:                               ;   in Loop: Header=BB0_3 Depth=1
	s_delay_alu instid0(SALU_CYCLE_1)
	s_or_b32 exec_lo, exec_lo, s4
.LBB0_65:                               ;   in Loop: Header=BB0_3 Depth=1
	s_delay_alu instid0(SALU_CYCLE_1)
	s_or_b32 exec_lo, exec_lo, s1
	s_wait_kmcnt 0x0
	s_clause 0x1
	global_load_b64 v[38:39], v7, s[2:3] offset:40
	global_load_b128 v[26:29], v7, s[2:3]
	v_readfirstlane_b32 s4, v36
	v_readfirstlane_b32 s5, v37
	s_mov_b32 s1, exec_lo
	s_wait_loadcnt 0x1
	v_and_b32_e32 v38, s4, v38
	v_and_b32_e32 v39, s5, v39
	s_delay_alu instid0(VALU_DEP_1) | instskip(SKIP_1) | instid1(VALU_DEP_1)
	v_mul_u64_e32 v[36:37], 24, v[38:39]
	s_wait_loadcnt 0x0
	v_add_nc_u64_e32 v[36:37], v[26:27], v[36:37]
	s_wait_xcnt 0x0
	s_and_saveexec_b32 s10, s0
	s_cbranch_execz .LBB0_67
; %bb.66:                               ;   in Loop: Header=BB0_3 Depth=1
	v_mov_b32_e32 v6, s1
	global_store_b128 v[36:37], v[6:9], off offset:8
.LBB0_67:                               ;   in Loop: Header=BB0_3 Depth=1
	s_wait_xcnt 0x0
	s_or_b32 exec_lo, exec_lo, s10
	v_cmp_gt_u64_e32 vcc_lo, 57, v[4:5]
	v_lshlrev_b64_e32 v[38:39], 12, v[38:39]
	v_and_b32_e32 v6, 0xffffff1f, v10
	v_lshl_add_u32 v10, v34, 2, 28
	v_cndmask_b32_e32 v0, 0, v2, vcc_lo
	s_delay_alu instid0(VALU_DEP_4) | instskip(NEXT) | instid1(VALU_DEP_2)
	v_add_nc_u64_e32 v[28:29], v[28:29], v[38:39]
	v_dual_lshlrev_b32 v6, 6, v30 :: v_dual_bitop2_b32 v0, v6, v0 bitop3:0x54
	s_delay_alu instid0(VALU_DEP_2) | instskip(NEXT) | instid1(VALU_DEP_3)
	v_readfirstlane_b32 s10, v28
	v_readfirstlane_b32 s11, v29
	s_delay_alu instid0(VALU_DEP_3)
	v_and_or_b32 v10, 0x1e0, v10, v0
	s_clause 0x3
	global_store_b128 v6, v[10:13], s[10:11]
	global_store_b128 v6, v[14:17], s[10:11] offset:16
	global_store_b128 v6, v[18:21], s[10:11] offset:32
	;; [unrolled: 1-line block ×3, first 2 shown]
	s_wait_xcnt 0x0
	s_and_saveexec_b32 s1, s0
	s_cbranch_execz .LBB0_75
; %bb.68:                               ;   in Loop: Header=BB0_3 Depth=1
	s_clause 0x1
	global_load_b64 v[18:19], v7, s[2:3] offset:32 scope:SCOPE_SYS
	global_load_b64 v[10:11], v7, s[2:3] offset:40
	s_mov_b32 s10, exec_lo
	v_dual_mov_b32 v16, s4 :: v_dual_mov_b32 v17, s5
	s_wait_loadcnt 0x0
	v_and_b32_e32 v11, s5, v11
	v_and_b32_e32 v10, s4, v10
	s_delay_alu instid0(VALU_DEP_1) | instskip(NEXT) | instid1(VALU_DEP_1)
	v_mul_u64_e32 v[10:11], 24, v[10:11]
	v_add_nc_u64_e32 v[14:15], v[26:27], v[10:11]
	global_store_b64 v[14:15], v[18:19], off
	global_wb scope:SCOPE_SYS
	s_wait_storecnt 0x0
	s_wait_xcnt 0x0
	global_atomic_cmpswap_b64 v[12:13], v7, v[16:19], s[2:3] offset:32 th:TH_ATOMIC_RETURN scope:SCOPE_SYS
	s_wait_loadcnt 0x0
	v_cmpx_ne_u64_e64 v[12:13], v[18:19]
	s_cbranch_execz .LBB0_71
; %bb.69:                               ;   in Loop: Header=BB0_3 Depth=1
	s_mov_b32 s11, 0
.LBB0_70:                               ;   Parent Loop BB0_3 Depth=1
                                        ; =>  This Inner Loop Header: Depth=2
	v_dual_mov_b32 v10, s4 :: v_dual_mov_b32 v11, s5
	s_sleep 1
	global_store_b64 v[14:15], v[12:13], off
	global_wb scope:SCOPE_SYS
	s_wait_storecnt 0x0
	s_wait_xcnt 0x0
	global_atomic_cmpswap_b64 v[10:11], v7, v[10:13], s[2:3] offset:32 th:TH_ATOMIC_RETURN scope:SCOPE_SYS
	s_wait_loadcnt 0x0
	v_cmp_eq_u64_e32 vcc_lo, v[10:11], v[12:13]
	v_mov_b64_e32 v[12:13], v[10:11]
	s_or_b32 s11, vcc_lo, s11
	s_delay_alu instid0(SALU_CYCLE_1)
	s_and_not1_b32 exec_lo, exec_lo, s11
	s_cbranch_execnz .LBB0_70
.LBB0_71:                               ;   in Loop: Header=BB0_3 Depth=1
	s_or_b32 exec_lo, exec_lo, s10
	global_load_b64 v[10:11], v7, s[2:3] offset:16
	s_mov_b32 s11, exec_lo
	s_mov_b32 s10, exec_lo
	v_mbcnt_lo_u32_b32 v0, s11, 0
	s_wait_xcnt 0x0
	s_delay_alu instid0(VALU_DEP_1)
	v_cmpx_eq_u32_e32 0, v0
	s_cbranch_execz .LBB0_73
; %bb.72:                               ;   in Loop: Header=BB0_3 Depth=1
	s_bcnt1_i32_b32 s11, s11
	s_delay_alu instid0(SALU_CYCLE_1)
	v_dual_mov_b32 v13, v7 :: v_dual_mov_b32 v12, s11
	global_wb scope:SCOPE_SYS
	s_wait_loadcnt 0x0
	s_wait_storecnt 0x0
	global_atomic_add_u64 v[10:11], v[12:13], off offset:8 scope:SCOPE_SYS
.LBB0_73:                               ;   in Loop: Header=BB0_3 Depth=1
	s_wait_xcnt 0x0
	s_or_b32 exec_lo, exec_lo, s10
	s_wait_loadcnt 0x0
	global_load_b64 v[12:13], v[10:11], off offset:16
	s_wait_loadcnt 0x0
	v_cmp_eq_u64_e32 vcc_lo, 0, v[12:13]
	s_cbranch_vccnz .LBB0_75
; %bb.74:                               ;   in Loop: Header=BB0_3 Depth=1
	global_load_b32 v10, v[10:11], off offset:24
	s_wait_xcnt 0x0
	v_mov_b32_e32 v11, v7
	s_wait_loadcnt 0x0
	v_readfirstlane_b32 s10, v10
	global_wb scope:SCOPE_SYS
	s_wait_storecnt 0x0
	global_store_b64 v[12:13], v[10:11], off scope:SCOPE_SYS
	s_and_b32 m0, s10, 0xffffff
	s_sendmsg sendmsg(MSG_INTERRUPT)
.LBB0_75:                               ;   in Loop: Header=BB0_3 Depth=1
	s_wait_xcnt 0x0
	s_or_b32 exec_lo, exec_lo, s1
	v_add_nc_u64_e32 v[10:11], v[28:29], v[6:7]
	s_branch .LBB0_79
.LBB0_76:                               ;   in Loop: Header=BB0_79 Depth=2
	s_wait_xcnt 0x0
	s_or_b32 exec_lo, exec_lo, s1
	s_delay_alu instid0(VALU_DEP_1)
	v_readfirstlane_b32 s1, v0
	s_cmp_eq_u32 s1, 0
	s_cbranch_scc1 .LBB0_78
; %bb.77:                               ;   in Loop: Header=BB0_79 Depth=2
	s_sleep 1
	s_cbranch_execnz .LBB0_79
	s_branch .LBB0_81
.LBB0_78:                               ;   in Loop: Header=BB0_3 Depth=1
	s_branch .LBB0_81
.LBB0_79:                               ;   Parent Loop BB0_3 Depth=1
                                        ; =>  This Inner Loop Header: Depth=2
	v_mov_b32_e32 v0, 1
	s_and_saveexec_b32 s1, s0
	s_cbranch_execz .LBB0_76
; %bb.80:                               ;   in Loop: Header=BB0_79 Depth=2
	global_load_b32 v0, v[36:37], off offset:20 scope:SCOPE_SYS
	s_wait_loadcnt 0x0
	global_inv scope:SCOPE_SYS
	v_and_b32_e32 v0, 1, v0
	s_branch .LBB0_76
.LBB0_81:                               ;   in Loop: Header=BB0_3 Depth=1
	global_load_b128 v[10:13], v[10:11], off
	s_wait_xcnt 0x0
	s_and_saveexec_b32 s10, s0
	s_cbranch_execz .LBB0_2
; %bb.82:                               ;   in Loop: Header=BB0_3 Depth=1
	s_wait_loadcnt 0x0
	s_clause 0x2
	global_load_b64 v[12:13], v7, s[2:3] offset:40
	global_load_b64 v[20:21], v7, s[2:3] offset:24 scope:SCOPE_SYS
	global_load_b64 v[14:15], v7, s[2:3]
	s_wait_loadcnt 0x2
	v_readfirstlane_b32 s12, v12
	v_readfirstlane_b32 s13, v13
	s_add_nc_u64 s[0:1], s[12:13], 1
	s_delay_alu instid0(SALU_CYCLE_1) | instskip(NEXT) | instid1(SALU_CYCLE_1)
	s_add_nc_u64 s[4:5], s[0:1], s[4:5]
	s_cmp_eq_u64 s[4:5], 0
	s_cselect_b32 s1, s1, s5
	s_cselect_b32 s0, s0, s4
	s_delay_alu instid0(SALU_CYCLE_1) | instskip(SKIP_1) | instid1(SALU_CYCLE_1)
	v_dual_mov_b32 v19, s1 :: v_dual_mov_b32 v18, s0
	s_and_b64 s[4:5], s[0:1], s[12:13]
	s_mul_u64 s[4:5], s[4:5], 24
	s_wait_loadcnt 0x0
	v_add_nc_u64_e32 v[16:17], s[4:5], v[14:15]
	global_store_b64 v[16:17], v[20:21], off
	global_wb scope:SCOPE_SYS
	s_wait_storecnt 0x0
	s_wait_xcnt 0x0
	global_atomic_cmpswap_b64 v[14:15], v7, v[18:21], s[2:3] offset:24 th:TH_ATOMIC_RETURN scope:SCOPE_SYS
	s_wait_loadcnt 0x0
	v_cmp_ne_u64_e32 vcc_lo, v[14:15], v[20:21]
	s_and_b32 exec_lo, exec_lo, vcc_lo
	s_cbranch_execz .LBB0_2
; %bb.83:                               ;   in Loop: Header=BB0_3 Depth=1
	s_mov_b32 s4, 0
.LBB0_84:                               ;   Parent Loop BB0_3 Depth=1
                                        ; =>  This Inner Loop Header: Depth=2
	v_dual_mov_b32 v12, s0 :: v_dual_mov_b32 v13, s1
	s_sleep 1
	global_store_b64 v[16:17], v[14:15], off
	global_wb scope:SCOPE_SYS
	s_wait_storecnt 0x0
	s_wait_xcnt 0x0
	global_atomic_cmpswap_b64 v[12:13], v7, v[12:15], s[2:3] offset:24 th:TH_ATOMIC_RETURN scope:SCOPE_SYS
	s_wait_loadcnt 0x0
	v_cmp_eq_u64_e32 vcc_lo, v[12:13], v[14:15]
	v_mov_b64_e32 v[14:15], v[12:13]
	s_or_b32 s4, vcc_lo, s4
	s_delay_alu instid0(SALU_CYCLE_1)
	s_and_not1_b32 exec_lo, exec_lo, s4
	s_cbranch_execnz .LBB0_84
	s_branch .LBB0_2
.LBB0_85:
	s_or_b32 exec_lo, exec_lo, s7
	s_branch .LBB0_114
.LBB0_86:
	s_load_b64 s[2:3], s[8:9], 0x50
	v_readfirstlane_b32 s0, v30
	v_mov_b64_e32 v[8:9], 0
	s_delay_alu instid0(VALU_DEP_2)
	v_cmp_eq_u32_e64 s0, s0, v30
	s_and_saveexec_b32 s1, s0
	s_cbranch_execz .LBB0_92
; %bb.87:
	v_mov_b32_e32 v0, 0
	s_mov_b32 s4, exec_lo
	s_wait_kmcnt 0x0
	global_load_b64 v[6:7], v0, s[2:3] offset:24 scope:SCOPE_SYS
	s_wait_loadcnt 0x0
	global_inv scope:SCOPE_SYS
	s_clause 0x1
	global_load_b64 v[4:5], v0, s[2:3] offset:40
	global_load_b64 v[8:9], v0, s[2:3]
	s_wait_loadcnt 0x1
	v_and_b32_e32 v4, v4, v6
	v_and_b32_e32 v5, v5, v7
	s_delay_alu instid0(VALU_DEP_1) | instskip(SKIP_1) | instid1(VALU_DEP_1)
	v_mul_u64_e32 v[4:5], 24, v[4:5]
	s_wait_loadcnt 0x0
	v_add_nc_u64_e32 v[4:5], v[8:9], v[4:5]
	global_load_b64 v[4:5], v[4:5], off scope:SCOPE_SYS
	s_wait_xcnt 0x0
	s_wait_loadcnt 0x0
	global_atomic_cmpswap_b64 v[8:9], v0, v[4:7], s[2:3] offset:24 th:TH_ATOMIC_RETURN scope:SCOPE_SYS
	s_wait_loadcnt 0x0
	global_inv scope:SCOPE_SYS
	s_wait_xcnt 0x0
	v_cmpx_ne_u64_e64 v[8:9], v[6:7]
	s_cbranch_execz .LBB0_91
; %bb.88:
	s_mov_b32 s5, 0
.LBB0_89:                               ; =>This Inner Loop Header: Depth=1
	s_sleep 1
	s_clause 0x1
	global_load_b64 v[4:5], v0, s[2:3] offset:40
	global_load_b64 v[10:11], v0, s[2:3]
	v_mov_b64_e32 v[6:7], v[8:9]
	s_wait_loadcnt 0x1
	s_delay_alu instid0(VALU_DEP_1) | instskip(SKIP_1) | instid1(VALU_DEP_1)
	v_and_b32_e32 v2, v4, v6
	s_wait_loadcnt 0x0
	v_mad_nc_u64_u32 v[8:9], v2, 24, v[10:11]
	s_delay_alu instid0(VALU_DEP_3) | instskip(NEXT) | instid1(VALU_DEP_1)
	v_and_b32_e32 v2, v5, v7
	v_mad_u32 v9, v2, 24, v9
	global_load_b64 v[4:5], v[8:9], off scope:SCOPE_SYS
	s_wait_xcnt 0x0
	s_wait_loadcnt 0x0
	global_atomic_cmpswap_b64 v[8:9], v0, v[4:7], s[2:3] offset:24 th:TH_ATOMIC_RETURN scope:SCOPE_SYS
	s_wait_loadcnt 0x0
	global_inv scope:SCOPE_SYS
	v_cmp_eq_u64_e32 vcc_lo, v[8:9], v[6:7]
	s_or_b32 s5, vcc_lo, s5
	s_wait_xcnt 0x0
	s_and_not1_b32 exec_lo, exec_lo, s5
	s_cbranch_execnz .LBB0_89
; %bb.90:
	s_or_b32 exec_lo, exec_lo, s5
.LBB0_91:
	s_delay_alu instid0(SALU_CYCLE_1)
	s_or_b32 exec_lo, exec_lo, s4
.LBB0_92:
	s_delay_alu instid0(SALU_CYCLE_1)
	s_or_b32 exec_lo, exec_lo, s1
	v_readfirstlane_b32 s4, v8
	v_mov_b32_e32 v2, 0
	v_readfirstlane_b32 s5, v9
	s_mov_b32 s1, exec_lo
	s_wait_loadcnt 0x0
	s_wait_kmcnt 0x0
	s_clause 0x1
	global_load_b64 v[10:11], v2, s[2:3] offset:40
	global_load_b128 v[4:7], v2, s[2:3]
	s_wait_loadcnt 0x1
	v_and_b32_e32 v10, s4, v10
	v_and_b32_e32 v11, s5, v11
	s_delay_alu instid0(VALU_DEP_1) | instskip(SKIP_1) | instid1(VALU_DEP_1)
	v_mul_u64_e32 v[8:9], 24, v[10:11]
	s_wait_loadcnt 0x0
	v_add_nc_u64_e32 v[8:9], v[4:5], v[8:9]
	s_wait_xcnt 0x0
	s_and_saveexec_b32 s6, s0
	s_cbranch_execz .LBB0_94
; %bb.93:
	v_mov_b64_e32 v[14:15], 0x100000002
	v_dual_mov_b32 v12, s1 :: v_dual_mov_b32 v13, v2
	global_store_b128 v[8:9], v[12:15], off offset:8
.LBB0_94:
	s_wait_xcnt 0x0
	s_or_b32 exec_lo, exec_lo, s6
	v_lshlrev_b64_e32 v[10:11], 12, v[10:11]
	s_mov_b32 s8, 0
	v_and_or_b32 v0, 0xffffff1f, v3, 32
	s_mov_b32 s10, s8
	s_mov_b32 s11, s8
	;; [unrolled: 1-line block ×3, first 2 shown]
	v_dual_mov_b32 v3, v2 :: v_dual_lshlrev_b32 v14, 6, v30
	v_add_nc_u64_e32 v[6:7], v[6:7], v[10:11]
	v_mov_b64_e32 v[12:13], s[10:11]
	v_mov_b64_e32 v[10:11], s[8:9]
	s_delay_alu instid0(VALU_DEP_3) | instskip(NEXT) | instid1(VALU_DEP_4)
	v_readfirstlane_b32 s6, v6
	v_readfirstlane_b32 s7, v7
	s_clause 0x3
	global_store_b128 v14, v[0:3], s[6:7]
	global_store_b128 v14, v[10:13], s[6:7] offset:16
	global_store_b128 v14, v[10:13], s[6:7] offset:32
	;; [unrolled: 1-line block ×3, first 2 shown]
	s_wait_xcnt 0x0
	s_and_saveexec_b32 s1, s0
	s_cbranch_execz .LBB0_102
; %bb.95:
	v_dual_mov_b32 v6, 0 :: v_dual_mov_b32 v11, s5
	s_mov_b32 s6, exec_lo
	s_clause 0x1
	global_load_b64 v[12:13], v6, s[2:3] offset:32 scope:SCOPE_SYS
	global_load_b64 v[0:1], v6, s[2:3] offset:40
	s_wait_loadcnt 0x0
	v_dual_mov_b32 v10, s4 :: v_dual_bitop2_b32 v1, s5, v1 bitop3:0x40
	v_and_b32_e32 v0, s4, v0
	s_delay_alu instid0(VALU_DEP_1) | instskip(NEXT) | instid1(VALU_DEP_1)
	v_mul_u64_e32 v[0:1], 24, v[0:1]
	v_add_nc_u64_e32 v[4:5], v[4:5], v[0:1]
	global_store_b64 v[4:5], v[12:13], off
	global_wb scope:SCOPE_SYS
	s_wait_storecnt 0x0
	s_wait_xcnt 0x0
	global_atomic_cmpswap_b64 v[2:3], v6, v[10:13], s[2:3] offset:32 th:TH_ATOMIC_RETURN scope:SCOPE_SYS
	s_wait_loadcnt 0x0
	v_cmpx_ne_u64_e64 v[2:3], v[12:13]
	s_cbranch_execz .LBB0_98
; %bb.96:
	s_mov_b32 s7, 0
.LBB0_97:                               ; =>This Inner Loop Header: Depth=1
	v_dual_mov_b32 v0, s4 :: v_dual_mov_b32 v1, s5
	s_sleep 1
	global_store_b64 v[4:5], v[2:3], off
	global_wb scope:SCOPE_SYS
	s_wait_storecnt 0x0
	s_wait_xcnt 0x0
	global_atomic_cmpswap_b64 v[0:1], v6, v[0:3], s[2:3] offset:32 th:TH_ATOMIC_RETURN scope:SCOPE_SYS
	s_wait_loadcnt 0x0
	v_cmp_eq_u64_e32 vcc_lo, v[0:1], v[2:3]
	v_mov_b64_e32 v[2:3], v[0:1]
	s_or_b32 s7, vcc_lo, s7
	s_delay_alu instid0(SALU_CYCLE_1)
	s_and_not1_b32 exec_lo, exec_lo, s7
	s_cbranch_execnz .LBB0_97
.LBB0_98:
	s_or_b32 exec_lo, exec_lo, s6
	v_mov_b32_e32 v3, 0
	s_mov_b32 s7, exec_lo
	s_mov_b32 s6, exec_lo
	v_mbcnt_lo_u32_b32 v2, s7, 0
	global_load_b64 v[0:1], v3, s[2:3] offset:16
	s_wait_xcnt 0x0
	v_cmpx_eq_u32_e32 0, v2
	s_cbranch_execz .LBB0_100
; %bb.99:
	s_bcnt1_i32_b32 s7, s7
	s_delay_alu instid0(SALU_CYCLE_1)
	v_mov_b32_e32 v2, s7
	global_wb scope:SCOPE_SYS
	s_wait_loadcnt 0x0
	s_wait_storecnt 0x0
	global_atomic_add_u64 v[0:1], v[2:3], off offset:8 scope:SCOPE_SYS
.LBB0_100:
	s_wait_xcnt 0x0
	s_or_b32 exec_lo, exec_lo, s6
	s_wait_loadcnt 0x0
	global_load_b64 v[2:3], v[0:1], off offset:16
	s_wait_loadcnt 0x0
	v_cmp_eq_u64_e32 vcc_lo, 0, v[2:3]
	s_cbranch_vccnz .LBB0_102
; %bb.101:
	global_load_b32 v0, v[0:1], off offset:24
	s_wait_xcnt 0x0
	v_mov_b32_e32 v1, 0
	s_wait_loadcnt 0x0
	v_readfirstlane_b32 s6, v0
	global_wb scope:SCOPE_SYS
	s_wait_storecnt 0x0
	global_store_b64 v[2:3], v[0:1], off scope:SCOPE_SYS
	s_and_b32 m0, s6, 0xffffff
	s_sendmsg sendmsg(MSG_INTERRUPT)
.LBB0_102:
	s_wait_xcnt 0x0
	s_or_b32 exec_lo, exec_lo, s1
	s_branch .LBB0_106
.LBB0_103:                              ;   in Loop: Header=BB0_106 Depth=1
	s_wait_xcnt 0x0
	s_or_b32 exec_lo, exec_lo, s1
	s_delay_alu instid0(VALU_DEP_1)
	v_readfirstlane_b32 s1, v0
	s_cmp_eq_u32 s1, 0
	s_cbranch_scc1 .LBB0_105
; %bb.104:                              ;   in Loop: Header=BB0_106 Depth=1
	s_sleep 1
	s_cbranch_execnz .LBB0_106
	s_branch .LBB0_108
.LBB0_105:
	s_branch .LBB0_108
.LBB0_106:                              ; =>This Inner Loop Header: Depth=1
	v_mov_b32_e32 v0, 1
	s_and_saveexec_b32 s1, s0
	s_cbranch_execz .LBB0_103
; %bb.107:                              ;   in Loop: Header=BB0_106 Depth=1
	global_load_b32 v0, v[8:9], off offset:20 scope:SCOPE_SYS
	s_wait_loadcnt 0x0
	global_inv scope:SCOPE_SYS
	v_and_b32_e32 v0, 1, v0
	s_branch .LBB0_103
.LBB0_108:
	s_and_saveexec_b32 s6, s0
	s_cbranch_execz .LBB0_112
; %bb.109:
	v_mov_b32_e32 v6, 0
	s_clause 0x2
	global_load_b64 v[0:1], v6, s[2:3] offset:40
	global_load_b64 v[10:11], v6, s[2:3] offset:24 scope:SCOPE_SYS
	global_load_b64 v[2:3], v6, s[2:3]
	s_wait_loadcnt 0x2
	v_readfirstlane_b32 s8, v0
	v_readfirstlane_b32 s9, v1
	s_add_nc_u64 s[0:1], s[8:9], 1
	s_delay_alu instid0(SALU_CYCLE_1) | instskip(NEXT) | instid1(SALU_CYCLE_1)
	s_add_nc_u64 s[4:5], s[0:1], s[4:5]
	s_cmp_eq_u64 s[4:5], 0
	s_cselect_b32 s1, s1, s5
	s_cselect_b32 s0, s0, s4
	v_mov_b32_e32 v9, s1
	s_and_b64 s[4:5], s[0:1], s[8:9]
	v_mov_b32_e32 v8, s0
	s_mul_u64 s[4:5], s[4:5], 24
	s_wait_loadcnt 0x0
	v_add_nc_u64_e32 v[4:5], s[4:5], v[2:3]
	global_store_b64 v[4:5], v[10:11], off
	global_wb scope:SCOPE_SYS
	s_wait_storecnt 0x0
	s_wait_xcnt 0x0
	global_atomic_cmpswap_b64 v[2:3], v6, v[8:11], s[2:3] offset:24 th:TH_ATOMIC_RETURN scope:SCOPE_SYS
	s_wait_loadcnt 0x0
	v_cmp_ne_u64_e32 vcc_lo, v[2:3], v[10:11]
	s_and_b32 exec_lo, exec_lo, vcc_lo
	s_cbranch_execz .LBB0_112
; %bb.110:
	s_mov_b32 s4, 0
.LBB0_111:                              ; =>This Inner Loop Header: Depth=1
	v_dual_mov_b32 v0, s0 :: v_dual_mov_b32 v1, s1
	s_sleep 1
	global_store_b64 v[4:5], v[2:3], off
	global_wb scope:SCOPE_SYS
	s_wait_storecnt 0x0
	s_wait_xcnt 0x0
	global_atomic_cmpswap_b64 v[0:1], v6, v[0:3], s[2:3] offset:24 th:TH_ATOMIC_RETURN scope:SCOPE_SYS
	s_wait_loadcnt 0x0
	v_cmp_eq_u64_e32 vcc_lo, v[0:1], v[2:3]
	v_mov_b64_e32 v[2:3], v[0:1]
	s_or_b32 s4, vcc_lo, s4
	s_delay_alu instid0(SALU_CYCLE_1)
	s_and_not1_b32 exec_lo, exec_lo, s4
	s_cbranch_execnz .LBB0_111
.LBB0_112:
	s_or_b32 exec_lo, exec_lo, s6
	s_wait_loadcnt 0x0
	s_wait_kmcnt 0x0
	s_set_pc_i64 s[30:31]
.LBB0_113:
	s_cbranch_execnz .LBB0_86
.LBB0_114:
	s_wait_loadcnt 0x0
	s_wait_kmcnt 0x0
	s_set_pc_i64 s[30:31]
.Lfunc_end0:
	.size	__ockl_fprintf_append_string_n, .Lfunc_end0-__ockl_fprintf_append_string_n
                                        ; -- End function
	.set .L__ockl_fprintf_append_string_n.num_vgpr, 40
	.set .L__ockl_fprintf_append_string_n.num_agpr, 0
	.set .L__ockl_fprintf_append_string_n.numbered_sgpr, 32
	.set .L__ockl_fprintf_append_string_n.num_named_barrier, 0
	.set .L__ockl_fprintf_append_string_n.private_seg_size, 0
	.set .L__ockl_fprintf_append_string_n.uses_vcc, 1
	.set .L__ockl_fprintf_append_string_n.uses_flat_scratch, 0
	.set .L__ockl_fprintf_append_string_n.has_dyn_sized_stack, 0
	.set .L__ockl_fprintf_append_string_n.has_recursion, 0
	.set .L__ockl_fprintf_append_string_n.has_indirect_call, 0
	.section	.AMDGPU.csdata,"",@progbits
; Function info:
; codeLenInByte = 4324
; TotalNumSgprs: 34
; NumVgprs: 40
; ScratchSize: 0
; MemoryBound: 0
	.text
	.p2align	2                               ; -- Begin function __assert_fail
	.type	__assert_fail,@function
__assert_fail:                          ; @__assert_fail
; %bb.0:
	s_wait_loadcnt_dscnt 0x0
	s_wait_kmcnt 0x0
	s_mov_b32 s20, s33
	s_mov_b32 s33, s32
	s_or_saveexec_b32 s0, -1
	scratch_store_b32 off, v40, s33 offset:48 ; 4-byte Folded Spill
	s_wait_xcnt 0x0
	s_mov_b32 exec_lo, s0
	v_writelane_b32 v40, s30, 0
	s_add_co_i32 s32, s32, 64
	v_writelane_b32 v40, s31, 1
	v_mov_b32_e32 v8, 0
	s_get_pc_i64 s[0:1]
	s_add_nc_u64 s[0:1], s[0:1], __const.__assert_fail.fmt@rel64+35
	v_dual_mov_b32 v5, v1 :: v_dual_mov_b32 v4, v0
	s_get_pc_i64 s[10:11]
	s_add_nc_u64 s[10:11], s[10:11], __const.__assert_fail.fmt@rel64+20
	global_load_b128 v[0:3], v8, s[0:1]
	s_wait_xcnt 0x0
	s_get_pc_i64 s[0:1]
	s_add_nc_u64 s[0:1], s[0:1], __const.__assert_fail.fmt@rel64+4
	s_clause 0x1
	s_load_b128 s[4:7], s[0:1], 0x0
	s_load_b128 s[12:15], s[10:11], 0x0
	s_load_b64 s[2:3], s[8:9], 0x50
	v_mbcnt_lo_u32_b32 v48, -1, 0
	v_mov_b64_e32 v[6:7], 0
	s_wait_xcnt 0x0
	s_delay_alu instid0(VALU_DEP_2) | instskip(NEXT) | instid1(VALU_DEP_1)
	v_readfirstlane_b32 s0, v48
	v_cmp_eq_u32_e64 s0, s0, v48
	s_wait_kmcnt 0x0
	v_mov_b64_e32 v[12:13], s[6:7]
	v_mov_b64_e32 v[10:11], s[4:5]
	;; [unrolled: 1-line block ×4, first 2 shown]
	s_clause 0x1
	scratch_store_b128 off, v[10:13], s33
	scratch_store_b128 off, v[14:17], s33 offset:16
	s_wait_loadcnt 0x0
	scratch_store_b128 off, v[0:3], s33 offset:31
	s_wait_xcnt 0x0
	s_and_saveexec_b32 s1, s0
	s_cbranch_execz .LBB1_6
; %bb.1:
	global_load_b64 v[2:3], v8, s[2:3] offset:24 scope:SCOPE_SYS
	s_wait_loadcnt 0x0
	global_inv scope:SCOPE_SYS
	s_clause 0x1
	global_load_b64 v[0:1], v8, s[2:3] offset:40
	global_load_b64 v[6:7], v8, s[2:3]
	s_mov_b32 s4, exec_lo
	s_wait_loadcnt 0x1
	v_and_b32_e32 v0, v0, v2
	v_and_b32_e32 v1, v1, v3
	s_delay_alu instid0(VALU_DEP_1) | instskip(SKIP_1) | instid1(VALU_DEP_1)
	v_mul_u64_e32 v[0:1], 24, v[0:1]
	s_wait_loadcnt 0x0
	v_add_nc_u64_e32 v[0:1], v[6:7], v[0:1]
	global_load_b64 v[0:1], v[0:1], off scope:SCOPE_SYS
	s_wait_xcnt 0x0
	s_wait_loadcnt 0x0
	global_atomic_cmpswap_b64 v[6:7], v8, v[0:3], s[2:3] offset:24 th:TH_ATOMIC_RETURN scope:SCOPE_SYS
	s_wait_loadcnt 0x0
	global_inv scope:SCOPE_SYS
	s_wait_xcnt 0x0
	v_cmpx_ne_u64_e64 v[6:7], v[2:3]
	s_cbranch_execz .LBB1_5
; %bb.2:
	v_mov_b32_e32 v0, 0
	s_mov_b32 s5, 0
.LBB1_3:                                ; =>This Inner Loop Header: Depth=1
	s_sleep 1
	s_clause 0x1
	global_load_b64 v[2:3], v0, s[2:3] offset:40
	global_load_b64 v[10:11], v0, s[2:3]
	v_mov_b64_e32 v[12:13], v[6:7]
	s_wait_loadcnt 0x1
	s_delay_alu instid0(VALU_DEP_1) | instskip(SKIP_1) | instid1(VALU_DEP_1)
	v_and_b32_e32 v1, v2, v12
	s_wait_loadcnt 0x0
	v_mad_nc_u64_u32 v[6:7], v1, 24, v[10:11]
	s_delay_alu instid0(VALU_DEP_3) | instskip(NEXT) | instid1(VALU_DEP_1)
	v_and_b32_e32 v1, v3, v13
	v_mad_u32 v7, v1, 24, v7
	global_load_b64 v[10:11], v[6:7], off scope:SCOPE_SYS
	s_wait_xcnt 0x0
	s_wait_loadcnt 0x0
	global_atomic_cmpswap_b64 v[6:7], v0, v[10:13], s[2:3] offset:24 th:TH_ATOMIC_RETURN scope:SCOPE_SYS
	s_wait_loadcnt 0x0
	global_inv scope:SCOPE_SYS
	v_cmp_eq_u64_e32 vcc_lo, v[6:7], v[12:13]
	s_or_b32 s5, vcc_lo, s5
	s_wait_xcnt 0x0
	s_and_not1_b32 exec_lo, exec_lo, s5
	s_cbranch_execnz .LBB1_3
; %bb.4:
	s_or_b32 exec_lo, exec_lo, s5
.LBB1_5:
	s_delay_alu instid0(SALU_CYCLE_1)
	s_or_b32 exec_lo, exec_lo, s4
.LBB1_6:
	s_delay_alu instid0(SALU_CYCLE_1)
	s_or_b32 exec_lo, exec_lo, s1
	s_clause 0x1
	global_load_b64 v[10:11], v8, s[2:3] offset:40
	global_load_b128 v[0:3], v8, s[2:3]
	v_readfirstlane_b32 s4, v6
	v_readfirstlane_b32 s5, v7
	s_mov_b32 s1, exec_lo
	s_wait_loadcnt 0x1
	s_wait_xcnt 0x0
	v_and_b32_e32 v8, s4, v10
	v_and_b32_e32 v9, s5, v11
	s_delay_alu instid0(VALU_DEP_1) | instskip(SKIP_1) | instid1(VALU_DEP_1)
	v_mul_u64_e32 v[6:7], 24, v[8:9]
	s_wait_loadcnt 0x0
	v_add_nc_u64_e32 v[6:7], v[0:1], v[6:7]
	s_and_saveexec_b32 s6, s0
	s_cbranch_execz .LBB1_8
; %bb.7:
	v_mov_b64_e32 v[12:13], 0x100000002
	v_dual_mov_b32 v10, s1 :: v_dual_mov_b32 v11, 0
	global_store_b128 v[6:7], v[10:13], off offset:8
.LBB1_8:
	s_wait_xcnt 0x0
	s_or_b32 exec_lo, exec_lo, s6
	v_lshlrev_b64_e32 v[8:9], 12, v[8:9]
	s_mov_b32 s12, 0
	v_dual_mov_b32 v31, 0 :: v_dual_lshlrev_b32 v30, 6, v48
	s_mov_b32 s14, s12
	s_mov_b32 s15, s12
	;; [unrolled: 1-line block ×3, first 2 shown]
	s_delay_alu instid0(VALU_DEP_2)
	v_add_nc_u64_e32 v[8:9], v[2:3], v[8:9]
	v_mov_b64_e32 v[16:17], s[14:15]
	v_mov_b64_e32 v[14:15], s[12:13]
	v_dual_mov_b32 v10, 33 :: v_dual_mov_b32 v12, 1
	v_dual_mov_b32 v11, v31 :: v_dual_mov_b32 v13, v31
	v_readfirstlane_b32 s6, v8
	v_readfirstlane_b32 s7, v9
	s_clause 0x3
	global_store_b128 v30, v[10:13], s[6:7]
	global_store_b128 v30, v[14:17], s[6:7] offset:16
	global_store_b128 v30, v[14:17], s[6:7] offset:32
	;; [unrolled: 1-line block ×3, first 2 shown]
	s_wait_xcnt 0x0
	s_and_saveexec_b32 s1, s0
	s_cbranch_execz .LBB1_16
; %bb.9:
	s_clause 0x1
	global_load_b64 v[14:15], v31, s[2:3] offset:32 scope:SCOPE_SYS
	global_load_b64 v[2:3], v31, s[2:3] offset:40
	s_mov_b32 s6, exec_lo
	v_dual_mov_b32 v12, s4 :: v_dual_mov_b32 v13, s5
	s_wait_loadcnt 0x0
	v_and_b32_e32 v3, s5, v3
	v_and_b32_e32 v2, s4, v2
	s_delay_alu instid0(VALU_DEP_1) | instskip(NEXT) | instid1(VALU_DEP_1)
	v_mul_u64_e32 v[2:3], 24, v[2:3]
	v_add_nc_u64_e32 v[10:11], v[0:1], v[2:3]
	global_store_b64 v[10:11], v[14:15], off
	global_wb scope:SCOPE_SYS
	s_wait_storecnt 0x0
	s_wait_xcnt 0x0
	global_atomic_cmpswap_b64 v[2:3], v31, v[12:15], s[2:3] offset:32 th:TH_ATOMIC_RETURN scope:SCOPE_SYS
	s_wait_loadcnt 0x0
	v_cmpx_ne_u64_e64 v[2:3], v[14:15]
	s_cbranch_execz .LBB1_12
; %bb.10:
	v_mov_b32_e32 v12, 0
	s_mov_b32 s7, 0
.LBB1_11:                               ; =>This Inner Loop Header: Depth=1
	v_dual_mov_b32 v0, s4 :: v_dual_mov_b32 v1, s5
	s_sleep 1
	global_store_b64 v[10:11], v[2:3], off
	global_wb scope:SCOPE_SYS
	s_wait_storecnt 0x0
	s_wait_xcnt 0x0
	global_atomic_cmpswap_b64 v[0:1], v12, v[0:3], s[2:3] offset:32 th:TH_ATOMIC_RETURN scope:SCOPE_SYS
	s_wait_loadcnt 0x0
	v_cmp_eq_u64_e32 vcc_lo, v[0:1], v[2:3]
	v_mov_b64_e32 v[2:3], v[0:1]
	s_or_b32 s7, vcc_lo, s7
	s_delay_alu instid0(SALU_CYCLE_1)
	s_and_not1_b32 exec_lo, exec_lo, s7
	s_cbranch_execnz .LBB1_11
.LBB1_12:
	s_or_b32 exec_lo, exec_lo, s6
	v_mov_b32_e32 v3, 0
	s_mov_b32 s7, exec_lo
	s_mov_b32 s6, exec_lo
	v_mbcnt_lo_u32_b32 v2, s7, 0
	global_load_b64 v[0:1], v3, s[2:3] offset:16
	s_wait_xcnt 0x0
	v_cmpx_eq_u32_e32 0, v2
	s_cbranch_execz .LBB1_14
; %bb.13:
	s_bcnt1_i32_b32 s7, s7
	s_delay_alu instid0(SALU_CYCLE_1)
	v_mov_b32_e32 v2, s7
	global_wb scope:SCOPE_SYS
	s_wait_loadcnt 0x0
	s_wait_storecnt 0x0
	global_atomic_add_u64 v[0:1], v[2:3], off offset:8 scope:SCOPE_SYS
.LBB1_14:
	s_wait_xcnt 0x0
	s_or_b32 exec_lo, exec_lo, s6
	s_wait_loadcnt 0x0
	global_load_b64 v[2:3], v[0:1], off offset:16
	s_wait_loadcnt 0x0
	v_cmp_eq_u64_e32 vcc_lo, 0, v[2:3]
	s_cbranch_vccnz .LBB1_16
; %bb.15:
	global_load_b32 v0, v[0:1], off offset:24
	s_wait_xcnt 0x0
	v_mov_b32_e32 v1, 0
	s_wait_loadcnt 0x0
	v_readfirstlane_b32 s6, v0
	global_wb scope:SCOPE_SYS
	s_wait_storecnt 0x0
	global_store_b64 v[2:3], v[0:1], off scope:SCOPE_SYS
	s_and_b32 m0, s6, 0xffffff
	s_sendmsg sendmsg(MSG_INTERRUPT)
.LBB1_16:
	s_wait_xcnt 0x0
	s_or_b32 exec_lo, exec_lo, s1
	v_add_nc_u64_e32 v[0:1], v[8:9], v[30:31]
	s_branch .LBB1_20
.LBB1_17:                               ;   in Loop: Header=BB1_20 Depth=1
	s_wait_xcnt 0x0
	s_or_b32 exec_lo, exec_lo, s1
	s_delay_alu instid0(VALU_DEP_1)
	v_readfirstlane_b32 s1, v2
	s_cmp_eq_u32 s1, 0
	s_cbranch_scc1 .LBB1_19
; %bb.18:                               ;   in Loop: Header=BB1_20 Depth=1
	s_sleep 1
	s_cbranch_execnz .LBB1_20
	s_branch .LBB1_22
.LBB1_19:
	s_branch .LBB1_22
.LBB1_20:                               ; =>This Inner Loop Header: Depth=1
	v_mov_b32_e32 v2, 1
	s_and_saveexec_b32 s1, s0
	s_cbranch_execz .LBB1_17
; %bb.21:                               ;   in Loop: Header=BB1_20 Depth=1
	global_load_b32 v2, v[6:7], off offset:20 scope:SCOPE_SYS
	s_wait_loadcnt 0x0
	global_inv scope:SCOPE_SYS
	v_and_b32_e32 v2, 1, v2
	s_branch .LBB1_17
.LBB1_22:
	global_load_b64 v[6:7], v[0:1], off
	s_wait_xcnt 0x0
	s_and_saveexec_b32 s6, s0
	s_cbranch_execz .LBB1_26
; %bb.23:
	v_mov_b32_e32 v10, 0
	s_clause 0x2
	global_load_b64 v[0:1], v10, s[2:3] offset:40
	global_load_b64 v[14:15], v10, s[2:3] offset:24 scope:SCOPE_SYS
	global_load_b64 v[2:3], v10, s[2:3]
	s_wait_loadcnt 0x2
	v_readfirstlane_b32 s10, v0
	v_readfirstlane_b32 s11, v1
	s_add_nc_u64 s[0:1], s[10:11], 1
	s_delay_alu instid0(SALU_CYCLE_1) | instskip(NEXT) | instid1(SALU_CYCLE_1)
	s_add_nc_u64 s[4:5], s[0:1], s[4:5]
	s_cmp_eq_u64 s[4:5], 0
	s_cselect_b32 s1, s1, s5
	s_cselect_b32 s0, s0, s4
	v_mov_b32_e32 v13, s1
	s_and_b64 s[4:5], s[0:1], s[10:11]
	v_mov_b32_e32 v12, s0
	s_mul_u64 s[4:5], s[4:5], 24
	s_wait_loadcnt 0x0
	v_add_nc_u64_e32 v[8:9], s[4:5], v[2:3]
	global_store_b64 v[8:9], v[14:15], off
	global_wb scope:SCOPE_SYS
	s_wait_storecnt 0x0
	s_wait_xcnt 0x0
	global_atomic_cmpswap_b64 v[2:3], v10, v[12:15], s[2:3] offset:24 th:TH_ATOMIC_RETURN scope:SCOPE_SYS
	s_wait_loadcnt 0x0
	v_cmp_ne_u64_e32 vcc_lo, v[2:3], v[14:15]
	s_and_b32 exec_lo, exec_lo, vcc_lo
	s_cbranch_execz .LBB1_26
; %bb.24:
	s_mov_b32 s4, 0
.LBB1_25:                               ; =>This Inner Loop Header: Depth=1
	v_dual_mov_b32 v0, s0 :: v_dual_mov_b32 v1, s1
	s_sleep 1
	global_store_b64 v[8:9], v[2:3], off
	global_wb scope:SCOPE_SYS
	s_wait_storecnt 0x0
	s_wait_xcnt 0x0
	global_atomic_cmpswap_b64 v[0:1], v10, v[0:3], s[2:3] offset:24 th:TH_ATOMIC_RETURN scope:SCOPE_SYS
	s_wait_loadcnt 0x0
	v_cmp_eq_u64_e32 vcc_lo, v[0:1], v[2:3]
	v_mov_b64_e32 v[2:3], v[0:1]
	s_or_b32 s4, vcc_lo, s4
	s_delay_alu instid0(SALU_CYCLE_1)
	s_and_not1_b32 exec_lo, exec_lo, s4
	s_cbranch_execnz .LBB1_25
.LBB1_26:
	s_or_b32 exec_lo, exec_lo, s6
	s_mov_b32 s1, s33
	s_mov_b32 s0, 0
.LBB1_27:                               ; =>This Inner Loop Header: Depth=1
	scratch_load_u8 v0, off, s1
	s_wait_xcnt 0x0
	s_add_co_i32 s1, s1, 1
	s_wait_loadcnt 0x0
	v_cmp_eq_u16_e32 vcc_lo, 0, v0
	v_mov_b32_e32 v0, s1
	s_or_b32 s0, vcc_lo, s0
	s_delay_alu instid0(SALU_CYCLE_1)
	s_and_not1_b32 exec_lo, exec_lo, s0
	s_cbranch_execnz .LBB1_27
; %bb.28:
	s_or_b32 exec_lo, exec_lo, s0
	s_cmp_lg_u32 s33, -1
	s_cbranch_scc0 .LBB1_113
; %bb.29:
	s_mov_b64 s[0:1], src_flat_scratch_base_lo
	v_mov_b64_e32 v[10:11], 0x100000002
	v_dual_add_nc_u32 v0, s0, v0 :: v_dual_bitop2_b32 v28, 2, v6 bitop3:0x40
	s_add_co_i32 s0, s33, s0
	v_dual_mov_b32 v31, 0 :: v_dual_mov_b32 v29, s33
	s_delay_alu instid0(VALU_DEP_2) | instskip(SKIP_3) | instid1(VALU_DEP_2)
	v_subrev_nc_u32_e32 v32, s0, v0
	v_dual_mov_b32 v1, v7 :: v_dual_bitop2_b32 v0, -3, v6 bitop3:0x40
	s_mov_b32 s7, 0
	s_mov_b32 s6, 0
	v_ashrrev_i32_e32 v33, 31, v32
	s_branch .LBB1_31
.LBB1_30:                               ;   in Loop: Header=BB1_31 Depth=1
	s_or_b32 exec_lo, exec_lo, s10
	v_sub_nc_u64_e32 v[32:33], v[32:33], v[34:35]
	v_add_nc_u32_e32 v29, v29, v34
	s_delay_alu instid0(VALU_DEP_2) | instskip(SKIP_1) | instid1(SALU_CYCLE_1)
	v_cmp_eq_u64_e32 vcc_lo, 0, v[32:33]
	s_or_b32 s6, vcc_lo, s6
	s_and_not1_b32 exec_lo, exec_lo, s6
	s_cbranch_execz .LBB1_192
.LBB1_31:                               ; =>This Loop Header: Depth=1
                                        ;     Child Loop BB1_34 Depth 2
                                        ;     Child Loop BB1_42 Depth 2
	;; [unrolled: 1-line block ×11, first 2 shown]
	s_delay_alu instid0(VALU_DEP_1)
	v_min_u64 v[34:35], v[32:33], 56
	v_add_nc_u32_e32 v9, 8, v29
	s_mov_b32 s0, exec_lo
	v_cmpx_gt_u64_e32 8, v[32:33]
	s_xor_b32 s4, exec_lo, s0
	s_cbranch_execz .LBB1_37
; %bb.32:                               ;   in Loop: Header=BB1_31 Depth=1
	v_mov_b64_e32 v[2:3], 0
	s_mov_b32 s5, exec_lo
	v_cmpx_ne_u64_e32 0, v[32:33]
	s_cbranch_execz .LBB1_36
; %bb.33:                               ;   in Loop: Header=BB1_31 Depth=1
	v_mov_b64_e32 v[2:3], 0
	v_dual_mov_b32 v9, v29 :: v_dual_lshlrev_b32 v8, 3, v34
	s_mov_b64 s[0:1], 0
	s_mov_b32 s10, 0
.LBB1_34:                               ;   Parent Loop BB1_31 Depth=1
                                        ; =>  This Inner Loop Header: Depth=2
	scratch_load_u8 v12, v9, off
	s_wait_xcnt 0x0
	v_dual_mov_b32 v13, s7 :: v_dual_add_nc_u32 v9, 1, v9
	s_wait_loadcnt 0x0
	v_and_b32_e32 v12, 0xffff, v12
	s_delay_alu instid0(VALU_DEP_1) | instskip(SKIP_1) | instid1(SALU_CYCLE_1)
	v_lshlrev_b64_e32 v[12:13], s0, v[12:13]
	s_add_nc_u64 s[0:1], s[0:1], 8
	v_cmp_eq_u32_e32 vcc_lo, s0, v8
	s_delay_alu instid0(VALU_DEP_2) | instskip(NEXT) | instid1(VALU_DEP_3)
	v_or_b32_e32 v3, v13, v3
	v_or_b32_e32 v2, v12, v2
	s_or_b32 s10, vcc_lo, s10
	s_delay_alu instid0(SALU_CYCLE_1)
	s_and_not1_b32 exec_lo, exec_lo, s10
	s_cbranch_execnz .LBB1_34
; %bb.35:                               ;   in Loop: Header=BB1_31 Depth=1
	s_or_b32 exec_lo, exec_lo, s10
.LBB1_36:                               ;   in Loop: Header=BB1_31 Depth=1
	s_delay_alu instid0(SALU_CYCLE_1)
	s_or_b32 exec_lo, exec_lo, s5
	v_mov_b32_e32 v9, v29
.LBB1_37:                               ;   in Loop: Header=BB1_31 Depth=1
	s_or_saveexec_b32 s0, s4
	v_mov_b32_e32 v14, 0
	s_xor_b32 exec_lo, exec_lo, s0
	s_cbranch_execz .LBB1_39
; %bb.38:                               ;   in Loop: Header=BB1_31 Depth=1
	scratch_load_b64 v[2:3], v29, off
	v_add_nc_u32_e32 v14, -8, v34
.LBB1_39:                               ;   in Loop: Header=BB1_31 Depth=1
	s_wait_xcnt 0x0
	s_or_b32 exec_lo, exec_lo, s0
	v_add_nc_u32_e32 v8, 8, v9
                                        ; implicit-def: $vgpr12_vgpr13
	s_mov_b32 s0, exec_lo
	v_cmpx_gt_u32_e32 8, v14
	s_xor_b32 s4, exec_lo, s0
	s_cbranch_execz .LBB1_45
; %bb.40:                               ;   in Loop: Header=BB1_31 Depth=1
	v_mov_b64_e32 v[12:13], 0
	s_mov_b32 s5, exec_lo
	v_cmpx_ne_u32_e32 0, v14
	s_cbranch_execz .LBB1_44
; %bb.41:                               ;   in Loop: Header=BB1_31 Depth=1
	v_mov_b64_e32 v[12:13], 0
	s_mov_b64 s[0:1], 0
	s_mov_b32 s10, 0
	s_mov_b32 s11, 0
.LBB1_42:                               ;   Parent Loop BB1_31 Depth=1
                                        ; =>  This Inner Loop Header: Depth=2
	scratch_load_u8 v8, v9, s11
	v_mov_b32_e32 v17, s7
	s_wait_xcnt 0x0
	s_add_co_i32 s11, s11, 1
	s_delay_alu instid0(SALU_CYCLE_1) | instskip(SKIP_3) | instid1(VALU_DEP_1)
	v_cmp_eq_u32_e32 vcc_lo, s11, v14
	s_or_b32 s10, vcc_lo, s10
	s_wait_loadcnt 0x0
	v_and_b32_e32 v16, 0xffff, v8
	v_lshlrev_b64_e32 v[16:17], s0, v[16:17]
	s_add_nc_u64 s[0:1], s[0:1], 8
	s_delay_alu instid0(VALU_DEP_1) | instskip(NEXT) | instid1(VALU_DEP_2)
	v_or_b32_e32 v13, v17, v13
	v_or_b32_e32 v12, v16, v12
	s_and_not1_b32 exec_lo, exec_lo, s10
	s_cbranch_execnz .LBB1_42
; %bb.43:                               ;   in Loop: Header=BB1_31 Depth=1
	s_or_b32 exec_lo, exec_lo, s10
.LBB1_44:                               ;   in Loop: Header=BB1_31 Depth=1
	s_delay_alu instid0(SALU_CYCLE_1)
	s_or_b32 exec_lo, exec_lo, s5
	v_mov_b32_e32 v8, v9
                                        ; implicit-def: $vgpr14
.LBB1_45:                               ;   in Loop: Header=BB1_31 Depth=1
	s_or_saveexec_b32 s0, s4
	v_mov_b32_e32 v16, 0
	s_xor_b32 exec_lo, exec_lo, s0
	s_cbranch_execz .LBB1_47
; %bb.46:                               ;   in Loop: Header=BB1_31 Depth=1
	scratch_load_b64 v[12:13], v9, off
	v_add_nc_u32_e32 v16, -8, v14
.LBB1_47:                               ;   in Loop: Header=BB1_31 Depth=1
	s_wait_xcnt 0x0
	s_or_b32 exec_lo, exec_lo, s0
	v_add_nc_u32_e32 v9, 8, v8
	s_mov_b32 s0, exec_lo
	v_cmpx_gt_u32_e32 8, v16
	s_xor_b32 s4, exec_lo, s0
	s_cbranch_execz .LBB1_53
; %bb.48:                               ;   in Loop: Header=BB1_31 Depth=1
	v_mov_b64_e32 v[14:15], 0
	s_mov_b32 s5, exec_lo
	v_cmpx_ne_u32_e32 0, v16
	s_cbranch_execz .LBB1_52
; %bb.49:                               ;   in Loop: Header=BB1_31 Depth=1
	v_mov_b64_e32 v[14:15], 0
	s_mov_b64 s[0:1], 0
	s_mov_b32 s10, 0
	s_mov_b32 s11, 0
.LBB1_50:                               ;   Parent Loop BB1_31 Depth=1
                                        ; =>  This Inner Loop Header: Depth=2
	scratch_load_u8 v9, v8, s11
	v_mov_b32_e32 v19, s7
	s_wait_xcnt 0x0
	s_add_co_i32 s11, s11, 1
	s_delay_alu instid0(SALU_CYCLE_1) | instskip(SKIP_3) | instid1(VALU_DEP_1)
	v_cmp_eq_u32_e32 vcc_lo, s11, v16
	s_or_b32 s10, vcc_lo, s10
	s_wait_loadcnt 0x0
	v_and_b32_e32 v18, 0xffff, v9
	v_lshlrev_b64_e32 v[18:19], s0, v[18:19]
	s_add_nc_u64 s[0:1], s[0:1], 8
	s_delay_alu instid0(VALU_DEP_1) | instskip(NEXT) | instid1(VALU_DEP_2)
	v_or_b32_e32 v15, v19, v15
	v_or_b32_e32 v14, v18, v14
	s_and_not1_b32 exec_lo, exec_lo, s10
	s_cbranch_execnz .LBB1_50
; %bb.51:                               ;   in Loop: Header=BB1_31 Depth=1
	s_or_b32 exec_lo, exec_lo, s10
.LBB1_52:                               ;   in Loop: Header=BB1_31 Depth=1
	s_delay_alu instid0(SALU_CYCLE_1)
	s_or_b32 exec_lo, exec_lo, s5
	v_mov_b32_e32 v9, v8
                                        ; implicit-def: $vgpr16
.LBB1_53:                               ;   in Loop: Header=BB1_31 Depth=1
	s_or_saveexec_b32 s0, s4
	v_mov_b32_e32 v18, 0
	s_xor_b32 exec_lo, exec_lo, s0
	s_cbranch_execz .LBB1_55
; %bb.54:                               ;   in Loop: Header=BB1_31 Depth=1
	scratch_load_b64 v[14:15], v8, off
	v_add_nc_u32_e32 v18, -8, v16
.LBB1_55:                               ;   in Loop: Header=BB1_31 Depth=1
	s_wait_xcnt 0x0
	s_or_b32 exec_lo, exec_lo, s0
	v_add_nc_u32_e32 v8, 8, v9
                                        ; implicit-def: $vgpr16_vgpr17
	s_mov_b32 s0, exec_lo
	v_cmpx_gt_u32_e32 8, v18
	s_xor_b32 s4, exec_lo, s0
	s_cbranch_execz .LBB1_61
; %bb.56:                               ;   in Loop: Header=BB1_31 Depth=1
	v_mov_b64_e32 v[16:17], 0
	s_mov_b32 s5, exec_lo
	v_cmpx_ne_u32_e32 0, v18
	s_cbranch_execz .LBB1_60
; %bb.57:                               ;   in Loop: Header=BB1_31 Depth=1
	v_mov_b64_e32 v[16:17], 0
	s_mov_b64 s[0:1], 0
	s_mov_b32 s10, 0
	s_mov_b32 s11, 0
.LBB1_58:                               ;   Parent Loop BB1_31 Depth=1
                                        ; =>  This Inner Loop Header: Depth=2
	scratch_load_u8 v8, v9, s11
	v_mov_b32_e32 v21, s7
	s_wait_xcnt 0x0
	s_add_co_i32 s11, s11, 1
	s_delay_alu instid0(SALU_CYCLE_1) | instskip(SKIP_3) | instid1(VALU_DEP_1)
	v_cmp_eq_u32_e32 vcc_lo, s11, v18
	s_or_b32 s10, vcc_lo, s10
	s_wait_loadcnt 0x0
	v_and_b32_e32 v20, 0xffff, v8
	v_lshlrev_b64_e32 v[20:21], s0, v[20:21]
	s_add_nc_u64 s[0:1], s[0:1], 8
	s_delay_alu instid0(VALU_DEP_1) | instskip(NEXT) | instid1(VALU_DEP_2)
	v_or_b32_e32 v17, v21, v17
	v_or_b32_e32 v16, v20, v16
	s_and_not1_b32 exec_lo, exec_lo, s10
	s_cbranch_execnz .LBB1_58
; %bb.59:                               ;   in Loop: Header=BB1_31 Depth=1
	s_or_b32 exec_lo, exec_lo, s10
.LBB1_60:                               ;   in Loop: Header=BB1_31 Depth=1
	s_delay_alu instid0(SALU_CYCLE_1)
	s_or_b32 exec_lo, exec_lo, s5
	v_mov_b32_e32 v8, v9
                                        ; implicit-def: $vgpr18
.LBB1_61:                               ;   in Loop: Header=BB1_31 Depth=1
	s_or_saveexec_b32 s0, s4
	v_mov_b32_e32 v20, 0
	s_xor_b32 exec_lo, exec_lo, s0
	s_cbranch_execz .LBB1_63
; %bb.62:                               ;   in Loop: Header=BB1_31 Depth=1
	scratch_load_b64 v[16:17], v9, off
	v_add_nc_u32_e32 v20, -8, v18
.LBB1_63:                               ;   in Loop: Header=BB1_31 Depth=1
	s_wait_xcnt 0x0
	s_or_b32 exec_lo, exec_lo, s0
	v_add_nc_u32_e32 v9, 8, v8
	s_mov_b32 s0, exec_lo
	v_cmpx_gt_u32_e32 8, v20
	s_xor_b32 s4, exec_lo, s0
	s_cbranch_execz .LBB1_69
; %bb.64:                               ;   in Loop: Header=BB1_31 Depth=1
	v_mov_b64_e32 v[18:19], 0
	s_mov_b32 s5, exec_lo
	v_cmpx_ne_u32_e32 0, v20
	s_cbranch_execz .LBB1_68
; %bb.65:                               ;   in Loop: Header=BB1_31 Depth=1
	v_mov_b64_e32 v[18:19], 0
	s_mov_b64 s[0:1], 0
	s_mov_b32 s10, 0
	s_mov_b32 s11, 0
.LBB1_66:                               ;   Parent Loop BB1_31 Depth=1
                                        ; =>  This Inner Loop Header: Depth=2
	scratch_load_u8 v9, v8, s11
	v_mov_b32_e32 v23, s7
	s_wait_xcnt 0x0
	s_add_co_i32 s11, s11, 1
	s_delay_alu instid0(SALU_CYCLE_1) | instskip(SKIP_3) | instid1(VALU_DEP_1)
	v_cmp_eq_u32_e32 vcc_lo, s11, v20
	s_or_b32 s10, vcc_lo, s10
	s_wait_loadcnt 0x0
	v_and_b32_e32 v22, 0xffff, v9
	v_lshlrev_b64_e32 v[22:23], s0, v[22:23]
	s_add_nc_u64 s[0:1], s[0:1], 8
	s_delay_alu instid0(VALU_DEP_1) | instskip(NEXT) | instid1(VALU_DEP_2)
	v_or_b32_e32 v19, v23, v19
	v_or_b32_e32 v18, v22, v18
	s_and_not1_b32 exec_lo, exec_lo, s10
	s_cbranch_execnz .LBB1_66
; %bb.67:                               ;   in Loop: Header=BB1_31 Depth=1
	s_or_b32 exec_lo, exec_lo, s10
.LBB1_68:                               ;   in Loop: Header=BB1_31 Depth=1
	s_delay_alu instid0(SALU_CYCLE_1)
	s_or_b32 exec_lo, exec_lo, s5
	v_mov_b32_e32 v9, v8
                                        ; implicit-def: $vgpr20
.LBB1_69:                               ;   in Loop: Header=BB1_31 Depth=1
	s_or_saveexec_b32 s0, s4
	v_mov_b32_e32 v22, 0
	s_xor_b32 exec_lo, exec_lo, s0
	s_cbranch_execz .LBB1_71
; %bb.70:                               ;   in Loop: Header=BB1_31 Depth=1
	scratch_load_b64 v[18:19], v8, off
	v_add_nc_u32_e32 v22, -8, v20
.LBB1_71:                               ;   in Loop: Header=BB1_31 Depth=1
	s_wait_xcnt 0x0
	s_or_b32 exec_lo, exec_lo, s0
	v_add_nc_u32_e32 v8, 8, v9
                                        ; implicit-def: $vgpr20_vgpr21
	s_mov_b32 s0, exec_lo
	v_cmpx_gt_u32_e32 8, v22
	s_xor_b32 s4, exec_lo, s0
	s_cbranch_execz .LBB1_77
; %bb.72:                               ;   in Loop: Header=BB1_31 Depth=1
	v_mov_b64_e32 v[20:21], 0
	s_mov_b32 s5, exec_lo
	v_cmpx_ne_u32_e32 0, v22
	s_cbranch_execz .LBB1_76
; %bb.73:                               ;   in Loop: Header=BB1_31 Depth=1
	v_mov_b64_e32 v[20:21], 0
	s_mov_b64 s[0:1], 0
	s_mov_b32 s10, 0
	s_mov_b32 s11, 0
.LBB1_74:                               ;   Parent Loop BB1_31 Depth=1
                                        ; =>  This Inner Loop Header: Depth=2
	scratch_load_u8 v8, v9, s11
	v_mov_b32_e32 v25, s7
	s_wait_xcnt 0x0
	s_add_co_i32 s11, s11, 1
	s_delay_alu instid0(SALU_CYCLE_1) | instskip(SKIP_3) | instid1(VALU_DEP_1)
	v_cmp_eq_u32_e32 vcc_lo, s11, v22
	s_or_b32 s10, vcc_lo, s10
	s_wait_loadcnt 0x0
	v_and_b32_e32 v24, 0xffff, v8
	v_lshlrev_b64_e32 v[24:25], s0, v[24:25]
	s_add_nc_u64 s[0:1], s[0:1], 8
	s_delay_alu instid0(VALU_DEP_1) | instskip(NEXT) | instid1(VALU_DEP_2)
	v_or_b32_e32 v21, v25, v21
	v_or_b32_e32 v20, v24, v20
	s_and_not1_b32 exec_lo, exec_lo, s10
	s_cbranch_execnz .LBB1_74
; %bb.75:                               ;   in Loop: Header=BB1_31 Depth=1
	s_or_b32 exec_lo, exec_lo, s10
.LBB1_76:                               ;   in Loop: Header=BB1_31 Depth=1
	s_delay_alu instid0(SALU_CYCLE_1)
	s_or_b32 exec_lo, exec_lo, s5
	v_mov_b32_e32 v8, v9
                                        ; implicit-def: $vgpr22
.LBB1_77:                               ;   in Loop: Header=BB1_31 Depth=1
	s_or_saveexec_b32 s0, s4
	v_mov_b32_e32 v24, 0
	s_xor_b32 exec_lo, exec_lo, s0
	s_cbranch_execz .LBB1_79
; %bb.78:                               ;   in Loop: Header=BB1_31 Depth=1
	scratch_load_b64 v[20:21], v9, off
	v_add_nc_u32_e32 v24, -8, v22
.LBB1_79:                               ;   in Loop: Header=BB1_31 Depth=1
	s_wait_xcnt 0x0
	s_or_b32 exec_lo, exec_lo, s0
	s_delay_alu instid0(SALU_CYCLE_1) | instskip(NEXT) | instid1(VALU_DEP_1)
	s_mov_b32 s0, exec_lo
	v_cmpx_gt_u32_e32 8, v24
	s_xor_b32 s4, exec_lo, s0
	s_cbranch_execz .LBB1_85
; %bb.80:                               ;   in Loop: Header=BB1_31 Depth=1
	v_mov_b64_e32 v[22:23], 0
	s_mov_b32 s5, exec_lo
	v_cmpx_ne_u32_e32 0, v24
	s_cbranch_execz .LBB1_84
; %bb.81:                               ;   in Loop: Header=BB1_31 Depth=1
	v_mov_b64_e32 v[22:23], 0
	s_mov_b64 s[0:1], 0
	s_mov_b32 s10, 0
.LBB1_82:                               ;   Parent Loop BB1_31 Depth=1
                                        ; =>  This Inner Loop Header: Depth=2
	scratch_load_u8 v9, v8, off
	v_dual_mov_b32 v27, s7 :: v_dual_add_nc_u32 v24, -1, v24
	s_delay_alu instid0(VALU_DEP_1) | instskip(SKIP_3) | instid1(VALU_DEP_1)
	v_cmp_eq_u32_e32 vcc_lo, 0, v24
	s_or_b32 s10, vcc_lo, s10
	s_wait_loadcnt 0x0
	v_and_b32_e32 v26, 0xffff, v9
	v_lshlrev_b64_e32 v[26:27], s0, v[26:27]
	s_wait_xcnt 0x0
	v_add_nc_u32_e32 v8, 1, v8
	s_add_nc_u64 s[0:1], s[0:1], 8
	s_delay_alu instid0(VALU_DEP_2) | instskip(NEXT) | instid1(VALU_DEP_3)
	v_or_b32_e32 v23, v27, v23
	v_or_b32_e32 v22, v26, v22
	s_and_not1_b32 exec_lo, exec_lo, s10
	s_cbranch_execnz .LBB1_82
; %bb.83:                               ;   in Loop: Header=BB1_31 Depth=1
	s_or_b32 exec_lo, exec_lo, s10
.LBB1_84:                               ;   in Loop: Header=BB1_31 Depth=1
	s_delay_alu instid0(SALU_CYCLE_1)
	s_or_b32 exec_lo, exec_lo, s5
                                        ; implicit-def: $vgpr8
.LBB1_85:                               ;   in Loop: Header=BB1_31 Depth=1
	s_and_not1_saveexec_b32 s0, s4
	s_cbranch_execz .LBB1_87
; %bb.86:                               ;   in Loop: Header=BB1_31 Depth=1
	scratch_load_b64 v[22:23], v8, off
.LBB1_87:                               ;   in Loop: Header=BB1_31 Depth=1
	s_wait_xcnt 0x0
	s_or_b32 exec_lo, exec_lo, s0
	v_readfirstlane_b32 s0, v48
	v_mov_b64_e32 v[8:9], 0
	s_delay_alu instid0(VALU_DEP_2)
	v_cmp_eq_u32_e64 s0, s0, v48
	s_and_saveexec_b32 s1, s0
	s_cbranch_execz .LBB1_93
; %bb.88:                               ;   in Loop: Header=BB1_31 Depth=1
	global_load_b64 v[26:27], v31, s[2:3] offset:24 scope:SCOPE_SYS
	s_wait_loadcnt 0x0
	global_inv scope:SCOPE_SYS
	s_clause 0x1
	global_load_b64 v[8:9], v31, s[2:3] offset:40
	global_load_b64 v[24:25], v31, s[2:3]
	s_mov_b32 s4, exec_lo
	s_wait_loadcnt 0x1
	v_and_b32_e32 v8, v8, v26
	v_and_b32_e32 v9, v9, v27
	s_delay_alu instid0(VALU_DEP_1) | instskip(SKIP_1) | instid1(VALU_DEP_1)
	v_mul_u64_e32 v[8:9], 24, v[8:9]
	s_wait_loadcnt 0x0
	v_add_nc_u64_e32 v[8:9], v[24:25], v[8:9]
	global_load_b64 v[24:25], v[8:9], off scope:SCOPE_SYS
	s_wait_xcnt 0x0
	s_wait_loadcnt 0x0
	global_atomic_cmpswap_b64 v[8:9], v31, v[24:27], s[2:3] offset:24 th:TH_ATOMIC_RETURN scope:SCOPE_SYS
	s_wait_loadcnt 0x0
	global_inv scope:SCOPE_SYS
	s_wait_xcnt 0x0
	v_cmpx_ne_u64_e64 v[8:9], v[26:27]
	s_cbranch_execz .LBB1_92
; %bb.89:                               ;   in Loop: Header=BB1_31 Depth=1
	s_mov_b32 s5, 0
.LBB1_90:                               ;   Parent Loop BB1_31 Depth=1
                                        ; =>  This Inner Loop Header: Depth=2
	s_sleep 1
	s_clause 0x1
	global_load_b64 v[24:25], v31, s[2:3] offset:40
	global_load_b64 v[36:37], v31, s[2:3]
	v_mov_b64_e32 v[26:27], v[8:9]
	s_wait_loadcnt 0x1
	s_delay_alu instid0(VALU_DEP_1) | instskip(NEXT) | instid1(VALU_DEP_2)
	v_and_b32_e32 v8, v24, v26
	v_and_b32_e32 v24, v25, v27
	s_wait_loadcnt 0x0
	s_delay_alu instid0(VALU_DEP_2) | instskip(NEXT) | instid1(VALU_DEP_1)
	v_mad_nc_u64_u32 v[8:9], v8, 24, v[36:37]
	v_mad_u32 v9, v24, 24, v9
	global_load_b64 v[24:25], v[8:9], off scope:SCOPE_SYS
	s_wait_xcnt 0x0
	s_wait_loadcnt 0x0
	global_atomic_cmpswap_b64 v[8:9], v31, v[24:27], s[2:3] offset:24 th:TH_ATOMIC_RETURN scope:SCOPE_SYS
	s_wait_loadcnt 0x0
	global_inv scope:SCOPE_SYS
	v_cmp_eq_u64_e32 vcc_lo, v[8:9], v[26:27]
	s_or_b32 s5, vcc_lo, s5
	s_wait_xcnt 0x0
	s_and_not1_b32 exec_lo, exec_lo, s5
	s_cbranch_execnz .LBB1_90
; %bb.91:                               ;   in Loop: Header=BB1_31 Depth=1
	s_or_b32 exec_lo, exec_lo, s5
.LBB1_92:                               ;   in Loop: Header=BB1_31 Depth=1
	s_delay_alu instid0(SALU_CYCLE_1)
	s_or_b32 exec_lo, exec_lo, s4
.LBB1_93:                               ;   in Loop: Header=BB1_31 Depth=1
	s_delay_alu instid0(SALU_CYCLE_1)
	s_or_b32 exec_lo, exec_lo, s1
	s_clause 0x1
	global_load_b64 v[36:37], v31, s[2:3] offset:40
	global_load_b128 v[24:27], v31, s[2:3]
	v_readfirstlane_b32 s4, v8
	v_readfirstlane_b32 s5, v9
	s_mov_b32 s1, exec_lo
	s_wait_loadcnt 0x1
	v_and_b32_e32 v38, s4, v36
	v_and_b32_e32 v39, s5, v37
	s_delay_alu instid0(VALU_DEP_1) | instskip(SKIP_1) | instid1(VALU_DEP_1)
	v_mul_u64_e32 v[8:9], 24, v[38:39]
	s_wait_loadcnt 0x0
	v_add_nc_u64_e32 v[36:37], v[24:25], v[8:9]
	s_wait_xcnt 0x0
	s_and_saveexec_b32 s10, s0
	s_cbranch_execz .LBB1_95
; %bb.94:                               ;   in Loop: Header=BB1_31 Depth=1
	v_dual_mov_b32 v8, s1 :: v_dual_mov_b32 v9, v31
	global_store_b128 v[36:37], v[8:11], off offset:8
.LBB1_95:                               ;   in Loop: Header=BB1_31 Depth=1
	s_wait_xcnt 0x0
	s_or_b32 exec_lo, exec_lo, s10
	v_cmp_gt_u64_e32 vcc_lo, 57, v[32:33]
	v_lshlrev_b64_e32 v[8:9], 12, v[38:39]
	v_and_b32_e32 v0, 0xffffff1f, v0
	v_lshl_add_u32 v39, v34, 2, 28
	v_cndmask_b32_e32 v38, 0, v28, vcc_lo
	s_delay_alu instid0(VALU_DEP_4) | instskip(NEXT) | instid1(VALU_DEP_2)
	v_add_nc_u64_e32 v[8:9], v[26:27], v[8:9]
	v_or_b32_e32 v0, v0, v38
	s_delay_alu instid0(VALU_DEP_2) | instskip(NEXT) | instid1(VALU_DEP_3)
	v_readfirstlane_b32 s10, v8
	v_readfirstlane_b32 s11, v9
	s_delay_alu instid0(VALU_DEP_3)
	v_and_or_b32 v0, 0x1e0, v39, v0
	s_clause 0x3
	global_store_b128 v30, v[0:3], s[10:11]
	global_store_b128 v30, v[12:15], s[10:11] offset:16
	global_store_b128 v30, v[16:19], s[10:11] offset:32
	;; [unrolled: 1-line block ×3, first 2 shown]
	s_wait_xcnt 0x0
	s_and_saveexec_b32 s1, s0
	s_cbranch_execz .LBB1_103
; %bb.96:                               ;   in Loop: Header=BB1_31 Depth=1
	s_clause 0x1
	global_load_b64 v[16:17], v31, s[2:3] offset:32 scope:SCOPE_SYS
	global_load_b64 v[0:1], v31, s[2:3] offset:40
	s_mov_b32 s10, exec_lo
	v_dual_mov_b32 v14, s4 :: v_dual_mov_b32 v15, s5
	s_wait_loadcnt 0x0
	v_and_b32_e32 v1, s5, v1
	v_and_b32_e32 v0, s4, v0
	s_delay_alu instid0(VALU_DEP_1) | instskip(NEXT) | instid1(VALU_DEP_1)
	v_mul_u64_e32 v[0:1], 24, v[0:1]
	v_add_nc_u64_e32 v[12:13], v[24:25], v[0:1]
	global_store_b64 v[12:13], v[16:17], off
	global_wb scope:SCOPE_SYS
	s_wait_storecnt 0x0
	s_wait_xcnt 0x0
	global_atomic_cmpswap_b64 v[2:3], v31, v[14:17], s[2:3] offset:32 th:TH_ATOMIC_RETURN scope:SCOPE_SYS
	s_wait_loadcnt 0x0
	v_cmpx_ne_u64_e64 v[2:3], v[16:17]
	s_cbranch_execz .LBB1_99
; %bb.97:                               ;   in Loop: Header=BB1_31 Depth=1
	s_mov_b32 s11, 0
.LBB1_98:                               ;   Parent Loop BB1_31 Depth=1
                                        ; =>  This Inner Loop Header: Depth=2
	v_dual_mov_b32 v0, s4 :: v_dual_mov_b32 v1, s5
	s_sleep 1
	global_store_b64 v[12:13], v[2:3], off
	global_wb scope:SCOPE_SYS
	s_wait_storecnt 0x0
	s_wait_xcnt 0x0
	global_atomic_cmpswap_b64 v[0:1], v31, v[0:3], s[2:3] offset:32 th:TH_ATOMIC_RETURN scope:SCOPE_SYS
	s_wait_loadcnt 0x0
	v_cmp_eq_u64_e32 vcc_lo, v[0:1], v[2:3]
	v_mov_b64_e32 v[2:3], v[0:1]
	s_or_b32 s11, vcc_lo, s11
	s_delay_alu instid0(SALU_CYCLE_1)
	s_and_not1_b32 exec_lo, exec_lo, s11
	s_cbranch_execnz .LBB1_98
.LBB1_99:                               ;   in Loop: Header=BB1_31 Depth=1
	s_or_b32 exec_lo, exec_lo, s10
	global_load_b64 v[0:1], v31, s[2:3] offset:16
	s_mov_b32 s11, exec_lo
	s_mov_b32 s10, exec_lo
	v_mbcnt_lo_u32_b32 v2, s11, 0
	s_wait_xcnt 0x0
	s_delay_alu instid0(VALU_DEP_1)
	v_cmpx_eq_u32_e32 0, v2
	s_cbranch_execz .LBB1_101
; %bb.100:                              ;   in Loop: Header=BB1_31 Depth=1
	s_bcnt1_i32_b32 s11, s11
	s_delay_alu instid0(SALU_CYCLE_1)
	v_dual_mov_b32 v3, v31 :: v_dual_mov_b32 v2, s11
	global_wb scope:SCOPE_SYS
	s_wait_loadcnt 0x0
	s_wait_storecnt 0x0
	global_atomic_add_u64 v[0:1], v[2:3], off offset:8 scope:SCOPE_SYS
.LBB1_101:                              ;   in Loop: Header=BB1_31 Depth=1
	s_wait_xcnt 0x0
	s_or_b32 exec_lo, exec_lo, s10
	s_wait_loadcnt 0x0
	global_load_b64 v[2:3], v[0:1], off offset:16
	s_wait_loadcnt 0x0
	v_cmp_eq_u64_e32 vcc_lo, 0, v[2:3]
	s_cbranch_vccnz .LBB1_103
; %bb.102:                              ;   in Loop: Header=BB1_31 Depth=1
	global_load_b32 v0, v[0:1], off offset:24
	s_wait_xcnt 0x0
	v_mov_b32_e32 v1, v31
	s_wait_loadcnt 0x0
	v_readfirstlane_b32 s10, v0
	global_wb scope:SCOPE_SYS
	s_wait_storecnt 0x0
	global_store_b64 v[2:3], v[0:1], off scope:SCOPE_SYS
	s_and_b32 m0, s10, 0xffffff
	s_sendmsg sendmsg(MSG_INTERRUPT)
.LBB1_103:                              ;   in Loop: Header=BB1_31 Depth=1
	s_wait_xcnt 0x0
	s_or_b32 exec_lo, exec_lo, s1
	v_add_nc_u64_e32 v[0:1], v[8:9], v[30:31]
	s_branch .LBB1_107
.LBB1_104:                              ;   in Loop: Header=BB1_107 Depth=2
	s_wait_xcnt 0x0
	s_or_b32 exec_lo, exec_lo, s1
	s_delay_alu instid0(VALU_DEP_1)
	v_readfirstlane_b32 s1, v2
	s_cmp_eq_u32 s1, 0
	s_cbranch_scc1 .LBB1_106
; %bb.105:                              ;   in Loop: Header=BB1_107 Depth=2
	s_sleep 1
	s_cbranch_execnz .LBB1_107
	s_branch .LBB1_109
.LBB1_106:                              ;   in Loop: Header=BB1_31 Depth=1
	s_branch .LBB1_109
.LBB1_107:                              ;   Parent Loop BB1_31 Depth=1
                                        ; =>  This Inner Loop Header: Depth=2
	v_mov_b32_e32 v2, 1
	s_and_saveexec_b32 s1, s0
	s_cbranch_execz .LBB1_104
; %bb.108:                              ;   in Loop: Header=BB1_107 Depth=2
	global_load_b32 v2, v[36:37], off offset:20 scope:SCOPE_SYS
	s_wait_loadcnt 0x0
	global_inv scope:SCOPE_SYS
	v_and_b32_e32 v2, 1, v2
	s_branch .LBB1_104
.LBB1_109:                              ;   in Loop: Header=BB1_31 Depth=1
	global_load_b64 v[0:1], v[0:1], off
	s_wait_xcnt 0x0
	s_and_saveexec_b32 s10, s0
	s_cbranch_execz .LBB1_30
; %bb.110:                              ;   in Loop: Header=BB1_31 Depth=1
	s_clause 0x2
	global_load_b64 v[2:3], v31, s[2:3] offset:40
	global_load_b64 v[16:17], v31, s[2:3] offset:24 scope:SCOPE_SYS
	global_load_b64 v[8:9], v31, s[2:3]
	s_wait_loadcnt 0x2
	v_readfirstlane_b32 s12, v2
	v_readfirstlane_b32 s13, v3
	s_add_nc_u64 s[0:1], s[12:13], 1
	s_delay_alu instid0(SALU_CYCLE_1) | instskip(NEXT) | instid1(SALU_CYCLE_1)
	s_add_nc_u64 s[4:5], s[0:1], s[4:5]
	s_cmp_eq_u64 s[4:5], 0
	s_cselect_b32 s1, s1, s5
	s_cselect_b32 s0, s0, s4
	s_delay_alu instid0(SALU_CYCLE_1) | instskip(SKIP_1) | instid1(SALU_CYCLE_1)
	v_dual_mov_b32 v15, s1 :: v_dual_mov_b32 v14, s0
	s_and_b64 s[4:5], s[0:1], s[12:13]
	s_mul_u64 s[4:5], s[4:5], 24
	s_wait_loadcnt 0x0
	v_add_nc_u64_e32 v[2:3], s[4:5], v[8:9]
	global_store_b64 v[2:3], v[16:17], off
	global_wb scope:SCOPE_SYS
	s_wait_storecnt 0x0
	s_wait_xcnt 0x0
	global_atomic_cmpswap_b64 v[14:15], v31, v[14:17], s[2:3] offset:24 th:TH_ATOMIC_RETURN scope:SCOPE_SYS
	s_wait_loadcnt 0x0
	v_cmp_ne_u64_e32 vcc_lo, v[14:15], v[16:17]
	s_and_b32 exec_lo, exec_lo, vcc_lo
	s_cbranch_execz .LBB1_30
; %bb.111:                              ;   in Loop: Header=BB1_31 Depth=1
	s_mov_b32 s4, 0
.LBB1_112:                              ;   Parent Loop BB1_31 Depth=1
                                        ; =>  This Inner Loop Header: Depth=2
	v_dual_mov_b32 v12, s0 :: v_dual_mov_b32 v13, s1
	s_sleep 1
	global_store_b64 v[2:3], v[14:15], off
	global_wb scope:SCOPE_SYS
	s_wait_storecnt 0x0
	s_wait_xcnt 0x0
	global_atomic_cmpswap_b64 v[8:9], v31, v[12:15], s[2:3] offset:24 th:TH_ATOMIC_RETURN scope:SCOPE_SYS
	s_wait_loadcnt 0x0
	v_cmp_eq_u64_e32 vcc_lo, v[8:9], v[14:15]
	v_mov_b64_e32 v[14:15], v[8:9]
	s_or_b32 s4, vcc_lo, s4
	s_delay_alu instid0(SALU_CYCLE_1)
	s_and_not1_b32 exec_lo, exec_lo, s4
	s_cbranch_execnz .LBB1_112
	s_branch .LBB1_30
.LBB1_113:
                                        ; implicit-def: $vgpr0_vgpr1
	s_cbranch_execnz .LBB1_193
.LBB1_114:
	s_get_pc_i64 s[4:5]
	s_add_nc_u64 s[4:5], s[4:5], .str.4@rel64+4
	s_delay_alu instid0(SALU_CYCLE_1)
	s_cmp_lg_u64 s[4:5], 0
	s_cbranch_scc0 .LBB1_221
.LBB1_115:
	v_mov_b64_e32 v[12:13], 0x100000002
	s_get_pc_i64 s[0:1]
	s_add_nc_u64 s[0:1], s[0:1], .str.4@rel64+80
	s_wait_loadcnt 0x0
	v_dual_mov_b32 v11, 0 :: v_dual_bitop2_b32 v2, 2, v0 bitop3:0x40
	v_dual_mov_b32 v7, v1 :: v_dual_bitop2_b32 v6, -3, v0 bitop3:0x40
	s_sub_co_i32 s6, s0, s4
	s_delay_alu instid0(SALU_CYCLE_1)
	s_ashr_i32 s7, s6, 31
	s_branch .LBB1_117
.LBB1_116:                              ;   in Loop: Header=BB1_117 Depth=1
	s_or_b32 exec_lo, exec_lo, s14
	s_sub_nc_u64 s[6:7], s[6:7], s[10:11]
	s_add_nc_u64 s[4:5], s[4:5], s[10:11]
	s_cmp_lg_u64 s[6:7], 0
	s_cbranch_scc0 .LBB1_215
.LBB1_117:                              ; =>This Loop Header: Depth=1
                                        ;     Child Loop BB1_120 Depth 2
                                        ;     Child Loop BB1_127 Depth 2
	;; [unrolled: 1-line block ×11, first 2 shown]
	v_min_u64 v[8:9], s[6:7], 56
	v_cmp_gt_u64_e64 s0, s[6:7], 7
	s_and_b32 vcc_lo, exec_lo, s0
	v_readfirstlane_b32 s10, v8
	v_readfirstlane_b32 s11, v9
	s_cbranch_vccnz .LBB1_122
; %bb.118:                              ;   in Loop: Header=BB1_117 Depth=1
	v_mov_b64_e32 v[8:9], 0
	s_cmp_eq_u64 s[6:7], 0
	s_cbranch_scc1 .LBB1_121
; %bb.119:                              ;   in Loop: Header=BB1_117 Depth=1
	s_mov_b64 s[0:1], 0
	s_mov_b64 s[12:13], 0
.LBB1_120:                              ;   Parent Loop BB1_117 Depth=1
                                        ; =>  This Inner Loop Header: Depth=2
	s_wait_xcnt 0x0
	s_add_nc_u64 s[14:15], s[4:5], s[12:13]
	s_add_nc_u64 s[12:13], s[12:13], 1
	global_load_u8 v3, v11, s[14:15]
	s_cmp_lg_u32 s10, s12
	s_wait_loadcnt 0x0
	v_and_b32_e32 v10, 0xffff, v3
	s_delay_alu instid0(VALU_DEP_1) | instskip(SKIP_1) | instid1(VALU_DEP_1)
	v_lshlrev_b64_e32 v[14:15], s0, v[10:11]
	s_add_nc_u64 s[0:1], s[0:1], 8
	v_or_b32_e32 v8, v14, v8
	s_delay_alu instid0(VALU_DEP_2)
	v_or_b32_e32 v9, v15, v9
	s_cbranch_scc1 .LBB1_120
.LBB1_121:                              ;   in Loop: Header=BB1_117 Depth=1
	s_mov_b64 s[12:13], s[4:5]
	s_mov_b32 s16, 0
	s_cbranch_execz .LBB1_123
	s_branch .LBB1_124
.LBB1_122:                              ;   in Loop: Header=BB1_117 Depth=1
	s_add_nc_u64 s[12:13], s[4:5], 8
	s_mov_b32 s16, 0
.LBB1_123:                              ;   in Loop: Header=BB1_117 Depth=1
	global_load_b64 v[8:9], v11, s[4:5]
	s_add_co_i32 s16, s10, -8
.LBB1_124:                              ;   in Loop: Header=BB1_117 Depth=1
	s_delay_alu instid0(SALU_CYCLE_1)
	s_cmp_gt_u32 s16, 7
	s_cbranch_scc1 .LBB1_129
; %bb.125:                              ;   in Loop: Header=BB1_117 Depth=1
	v_mov_b64_e32 v[14:15], 0
	s_cmp_eq_u32 s16, 0
	s_cbranch_scc1 .LBB1_128
; %bb.126:                              ;   in Loop: Header=BB1_117 Depth=1
	s_mov_b64 s[0:1], 0
	s_wait_xcnt 0x0
	s_mov_b64 s[14:15], 0
.LBB1_127:                              ;   Parent Loop BB1_117 Depth=1
                                        ; =>  This Inner Loop Header: Depth=2
	s_wait_xcnt 0x0
	s_add_nc_u64 s[18:19], s[12:13], s[14:15]
	s_add_nc_u64 s[14:15], s[14:15], 1
	global_load_u8 v3, v11, s[18:19]
	s_cmp_lg_u32 s16, s14
	s_wait_loadcnt 0x0
	v_and_b32_e32 v10, 0xffff, v3
	s_delay_alu instid0(VALU_DEP_1) | instskip(SKIP_1) | instid1(VALU_DEP_1)
	v_lshlrev_b64_e32 v[16:17], s0, v[10:11]
	s_add_nc_u64 s[0:1], s[0:1], 8
	v_or_b32_e32 v14, v16, v14
	s_delay_alu instid0(VALU_DEP_2)
	v_or_b32_e32 v15, v17, v15
	s_cbranch_scc1 .LBB1_127
.LBB1_128:                              ;   in Loop: Header=BB1_117 Depth=1
	s_wait_xcnt 0x0
	s_mov_b64 s[0:1], s[12:13]
	s_mov_b32 s17, 0
	s_cbranch_execz .LBB1_130
	s_branch .LBB1_131
.LBB1_129:                              ;   in Loop: Header=BB1_117 Depth=1
	s_add_nc_u64 s[0:1], s[12:13], 8
	s_wait_xcnt 0x0
                                        ; implicit-def: $vgpr14_vgpr15
	s_mov_b32 s17, 0
.LBB1_130:                              ;   in Loop: Header=BB1_117 Depth=1
	global_load_b64 v[14:15], v11, s[12:13]
	s_add_co_i32 s17, s16, -8
.LBB1_131:                              ;   in Loop: Header=BB1_117 Depth=1
	s_delay_alu instid0(SALU_CYCLE_1)
	s_cmp_gt_u32 s17, 7
	s_cbranch_scc1 .LBB1_136
; %bb.132:                              ;   in Loop: Header=BB1_117 Depth=1
	v_mov_b64_e32 v[16:17], 0
	s_cmp_eq_u32 s17, 0
	s_cbranch_scc1 .LBB1_135
; %bb.133:                              ;   in Loop: Header=BB1_117 Depth=1
	s_wait_xcnt 0x0
	s_mov_b64 s[12:13], 0
	s_mov_b64 s[14:15], 0
.LBB1_134:                              ;   Parent Loop BB1_117 Depth=1
                                        ; =>  This Inner Loop Header: Depth=2
	s_wait_xcnt 0x0
	s_add_nc_u64 s[18:19], s[0:1], s[14:15]
	s_add_nc_u64 s[14:15], s[14:15], 1
	global_load_u8 v3, v11, s[18:19]
	s_cmp_lg_u32 s17, s14
	s_wait_loadcnt 0x0
	v_and_b32_e32 v10, 0xffff, v3
	s_delay_alu instid0(VALU_DEP_1) | instskip(SKIP_1) | instid1(VALU_DEP_1)
	v_lshlrev_b64_e32 v[18:19], s12, v[10:11]
	s_add_nc_u64 s[12:13], s[12:13], 8
	v_or_b32_e32 v16, v18, v16
	s_delay_alu instid0(VALU_DEP_2)
	v_or_b32_e32 v17, v19, v17
	s_cbranch_scc1 .LBB1_134
.LBB1_135:                              ;   in Loop: Header=BB1_117 Depth=1
	s_wait_xcnt 0x0
	s_mov_b64 s[12:13], s[0:1]
	s_mov_b32 s16, 0
	s_cbranch_execz .LBB1_137
	s_branch .LBB1_138
.LBB1_136:                              ;   in Loop: Header=BB1_117 Depth=1
	s_wait_xcnt 0x0
	s_add_nc_u64 s[12:13], s[0:1], 8
	s_mov_b32 s16, 0
.LBB1_137:                              ;   in Loop: Header=BB1_117 Depth=1
	global_load_b64 v[16:17], v11, s[0:1]
	s_add_co_i32 s16, s17, -8
.LBB1_138:                              ;   in Loop: Header=BB1_117 Depth=1
	s_delay_alu instid0(SALU_CYCLE_1)
	s_cmp_gt_u32 s16, 7
	s_cbranch_scc1 .LBB1_143
; %bb.139:                              ;   in Loop: Header=BB1_117 Depth=1
	v_mov_b64_e32 v[18:19], 0
	s_cmp_eq_u32 s16, 0
	s_cbranch_scc1 .LBB1_142
; %bb.140:                              ;   in Loop: Header=BB1_117 Depth=1
	s_wait_xcnt 0x0
	s_mov_b64 s[0:1], 0
	s_mov_b64 s[14:15], 0
.LBB1_141:                              ;   Parent Loop BB1_117 Depth=1
                                        ; =>  This Inner Loop Header: Depth=2
	s_wait_xcnt 0x0
	s_add_nc_u64 s[18:19], s[12:13], s[14:15]
	s_add_nc_u64 s[14:15], s[14:15], 1
	global_load_u8 v3, v11, s[18:19]
	s_cmp_lg_u32 s16, s14
	s_wait_loadcnt 0x0
	v_and_b32_e32 v10, 0xffff, v3
	s_delay_alu instid0(VALU_DEP_1) | instskip(SKIP_1) | instid1(VALU_DEP_1)
	v_lshlrev_b64_e32 v[20:21], s0, v[10:11]
	s_add_nc_u64 s[0:1], s[0:1], 8
	v_or_b32_e32 v18, v20, v18
	s_delay_alu instid0(VALU_DEP_2)
	v_or_b32_e32 v19, v21, v19
	s_cbranch_scc1 .LBB1_141
.LBB1_142:                              ;   in Loop: Header=BB1_117 Depth=1
	s_wait_xcnt 0x0
	s_mov_b64 s[0:1], s[12:13]
	s_mov_b32 s17, 0
	s_cbranch_execz .LBB1_144
	s_branch .LBB1_145
.LBB1_143:                              ;   in Loop: Header=BB1_117 Depth=1
	s_wait_xcnt 0x0
	s_add_nc_u64 s[0:1], s[12:13], 8
                                        ; implicit-def: $vgpr18_vgpr19
	s_mov_b32 s17, 0
.LBB1_144:                              ;   in Loop: Header=BB1_117 Depth=1
	global_load_b64 v[18:19], v11, s[12:13]
	s_add_co_i32 s17, s16, -8
.LBB1_145:                              ;   in Loop: Header=BB1_117 Depth=1
	s_delay_alu instid0(SALU_CYCLE_1)
	s_cmp_gt_u32 s17, 7
	s_cbranch_scc1 .LBB1_150
; %bb.146:                              ;   in Loop: Header=BB1_117 Depth=1
	v_mov_b64_e32 v[20:21], 0
	s_cmp_eq_u32 s17, 0
	s_cbranch_scc1 .LBB1_149
; %bb.147:                              ;   in Loop: Header=BB1_117 Depth=1
	s_wait_xcnt 0x0
	s_mov_b64 s[12:13], 0
	s_mov_b64 s[14:15], 0
.LBB1_148:                              ;   Parent Loop BB1_117 Depth=1
                                        ; =>  This Inner Loop Header: Depth=2
	s_wait_xcnt 0x0
	s_add_nc_u64 s[18:19], s[0:1], s[14:15]
	s_add_nc_u64 s[14:15], s[14:15], 1
	global_load_u8 v3, v11, s[18:19]
	s_cmp_lg_u32 s17, s14
	s_wait_loadcnt 0x0
	v_and_b32_e32 v10, 0xffff, v3
	s_delay_alu instid0(VALU_DEP_1) | instskip(SKIP_1) | instid1(VALU_DEP_1)
	v_lshlrev_b64_e32 v[22:23], s12, v[10:11]
	s_add_nc_u64 s[12:13], s[12:13], 8
	v_or_b32_e32 v20, v22, v20
	s_delay_alu instid0(VALU_DEP_2)
	v_or_b32_e32 v21, v23, v21
	s_cbranch_scc1 .LBB1_148
.LBB1_149:                              ;   in Loop: Header=BB1_117 Depth=1
	s_wait_xcnt 0x0
	s_mov_b64 s[12:13], s[0:1]
	s_mov_b32 s16, 0
	s_cbranch_execz .LBB1_151
	s_branch .LBB1_152
.LBB1_150:                              ;   in Loop: Header=BB1_117 Depth=1
	s_wait_xcnt 0x0
	s_add_nc_u64 s[12:13], s[0:1], 8
	s_mov_b32 s16, 0
.LBB1_151:                              ;   in Loop: Header=BB1_117 Depth=1
	global_load_b64 v[20:21], v11, s[0:1]
	s_add_co_i32 s16, s17, -8
.LBB1_152:                              ;   in Loop: Header=BB1_117 Depth=1
	s_delay_alu instid0(SALU_CYCLE_1)
	s_cmp_gt_u32 s16, 7
	s_cbranch_scc1 .LBB1_157
; %bb.153:                              ;   in Loop: Header=BB1_117 Depth=1
	v_mov_b64_e32 v[22:23], 0
	s_cmp_eq_u32 s16, 0
	s_cbranch_scc1 .LBB1_156
; %bb.154:                              ;   in Loop: Header=BB1_117 Depth=1
	s_wait_xcnt 0x0
	s_mov_b64 s[0:1], 0
	s_mov_b64 s[14:15], 0
.LBB1_155:                              ;   Parent Loop BB1_117 Depth=1
                                        ; =>  This Inner Loop Header: Depth=2
	s_wait_xcnt 0x0
	s_add_nc_u64 s[18:19], s[12:13], s[14:15]
	s_add_nc_u64 s[14:15], s[14:15], 1
	global_load_u8 v3, v11, s[18:19]
	s_cmp_lg_u32 s16, s14
	s_wait_loadcnt 0x0
	v_and_b32_e32 v10, 0xffff, v3
	s_delay_alu instid0(VALU_DEP_1) | instskip(SKIP_1) | instid1(VALU_DEP_1)
	v_lshlrev_b64_e32 v[24:25], s0, v[10:11]
	s_add_nc_u64 s[0:1], s[0:1], 8
	v_or_b32_e32 v22, v24, v22
	s_delay_alu instid0(VALU_DEP_2)
	v_or_b32_e32 v23, v25, v23
	s_cbranch_scc1 .LBB1_155
.LBB1_156:                              ;   in Loop: Header=BB1_117 Depth=1
	s_wait_xcnt 0x0
	s_mov_b64 s[0:1], s[12:13]
	s_mov_b32 s17, 0
	s_cbranch_execz .LBB1_158
	s_branch .LBB1_159
.LBB1_157:                              ;   in Loop: Header=BB1_117 Depth=1
	s_wait_xcnt 0x0
	s_add_nc_u64 s[0:1], s[12:13], 8
                                        ; implicit-def: $vgpr22_vgpr23
	s_mov_b32 s17, 0
.LBB1_158:                              ;   in Loop: Header=BB1_117 Depth=1
	global_load_b64 v[22:23], v11, s[12:13]
	s_add_co_i32 s17, s16, -8
.LBB1_159:                              ;   in Loop: Header=BB1_117 Depth=1
	s_delay_alu instid0(SALU_CYCLE_1)
	s_cmp_gt_u32 s17, 7
	s_cbranch_scc1 .LBB1_164
; %bb.160:                              ;   in Loop: Header=BB1_117 Depth=1
	v_mov_b64_e32 v[24:25], 0
	s_cmp_eq_u32 s17, 0
	s_cbranch_scc1 .LBB1_163
; %bb.161:                              ;   in Loop: Header=BB1_117 Depth=1
	s_wait_xcnt 0x0
	s_mov_b64 s[12:13], 0
	s_mov_b64 s[14:15], s[0:1]
.LBB1_162:                              ;   Parent Loop BB1_117 Depth=1
                                        ; =>  This Inner Loop Header: Depth=2
	global_load_u8 v3, v11, s[14:15]
	s_add_co_i32 s17, s17, -1
	s_wait_xcnt 0x0
	s_add_nc_u64 s[14:15], s[14:15], 1
	s_cmp_lg_u32 s17, 0
	s_wait_loadcnt 0x0
	v_and_b32_e32 v10, 0xffff, v3
	s_delay_alu instid0(VALU_DEP_1) | instskip(SKIP_1) | instid1(VALU_DEP_1)
	v_lshlrev_b64_e32 v[26:27], s12, v[10:11]
	s_add_nc_u64 s[12:13], s[12:13], 8
	v_or_b32_e32 v24, v26, v24
	s_delay_alu instid0(VALU_DEP_2)
	v_or_b32_e32 v25, v27, v25
	s_cbranch_scc1 .LBB1_162
.LBB1_163:                              ;   in Loop: Header=BB1_117 Depth=1
	s_wait_xcnt 0x0
	s_cbranch_execz .LBB1_165
	s_branch .LBB1_166
.LBB1_164:                              ;   in Loop: Header=BB1_117 Depth=1
	s_wait_xcnt 0x0
.LBB1_165:                              ;   in Loop: Header=BB1_117 Depth=1
	global_load_b64 v[24:25], v11, s[0:1]
.LBB1_166:                              ;   in Loop: Header=BB1_117 Depth=1
	s_wait_xcnt 0x0
	v_readfirstlane_b32 s0, v48
	v_mov_b64_e32 v[32:33], 0
	s_delay_alu instid0(VALU_DEP_2)
	v_cmp_eq_u32_e64 s0, s0, v48
	s_and_saveexec_b32 s1, s0
	s_cbranch_execz .LBB1_172
; %bb.167:                              ;   in Loop: Header=BB1_117 Depth=1
	global_load_b64 v[28:29], v11, s[2:3] offset:24 scope:SCOPE_SYS
	s_wait_loadcnt 0x0
	global_inv scope:SCOPE_SYS
	s_clause 0x1
	global_load_b64 v[26:27], v11, s[2:3] offset:40
	global_load_b64 v[32:33], v11, s[2:3]
	s_mov_b32 s12, exec_lo
	s_wait_loadcnt 0x1
	v_and_b32_e32 v26, v26, v28
	v_and_b32_e32 v27, v27, v29
	s_delay_alu instid0(VALU_DEP_1) | instskip(SKIP_1) | instid1(VALU_DEP_1)
	v_mul_u64_e32 v[26:27], 24, v[26:27]
	s_wait_loadcnt 0x0
	v_add_nc_u64_e32 v[26:27], v[32:33], v[26:27]
	global_load_b64 v[26:27], v[26:27], off scope:SCOPE_SYS
	s_wait_xcnt 0x0
	s_wait_loadcnt 0x0
	global_atomic_cmpswap_b64 v[32:33], v11, v[26:29], s[2:3] offset:24 th:TH_ATOMIC_RETURN scope:SCOPE_SYS
	s_wait_loadcnt 0x0
	global_inv scope:SCOPE_SYS
	s_wait_xcnt 0x0
	v_cmpx_ne_u64_e64 v[32:33], v[28:29]
	s_cbranch_execz .LBB1_171
; %bb.168:                              ;   in Loop: Header=BB1_117 Depth=1
	s_mov_b32 s13, 0
.LBB1_169:                              ;   Parent Loop BB1_117 Depth=1
                                        ; =>  This Inner Loop Header: Depth=2
	s_sleep 1
	s_clause 0x1
	global_load_b64 v[26:27], v11, s[2:3] offset:40
	global_load_b64 v[34:35], v11, s[2:3]
	v_mov_b64_e32 v[28:29], v[32:33]
	s_wait_loadcnt 0x1
	s_delay_alu instid0(VALU_DEP_1) | instskip(SKIP_1) | instid1(VALU_DEP_1)
	v_and_b32_e32 v3, v26, v28
	s_wait_loadcnt 0x0
	v_mad_nc_u64_u32 v[32:33], v3, 24, v[34:35]
	s_delay_alu instid0(VALU_DEP_3) | instskip(NEXT) | instid1(VALU_DEP_1)
	v_and_b32_e32 v3, v27, v29
	v_mad_u32 v33, v3, 24, v33
	global_load_b64 v[26:27], v[32:33], off scope:SCOPE_SYS
	s_wait_xcnt 0x0
	s_wait_loadcnt 0x0
	global_atomic_cmpswap_b64 v[32:33], v11, v[26:29], s[2:3] offset:24 th:TH_ATOMIC_RETURN scope:SCOPE_SYS
	s_wait_loadcnt 0x0
	global_inv scope:SCOPE_SYS
	v_cmp_eq_u64_e32 vcc_lo, v[32:33], v[28:29]
	s_or_b32 s13, vcc_lo, s13
	s_wait_xcnt 0x0
	s_and_not1_b32 exec_lo, exec_lo, s13
	s_cbranch_execnz .LBB1_169
; %bb.170:                              ;   in Loop: Header=BB1_117 Depth=1
	s_or_b32 exec_lo, exec_lo, s13
.LBB1_171:                              ;   in Loop: Header=BB1_117 Depth=1
	s_delay_alu instid0(SALU_CYCLE_1)
	s_or_b32 exec_lo, exec_lo, s12
.LBB1_172:                              ;   in Loop: Header=BB1_117 Depth=1
	s_delay_alu instid0(SALU_CYCLE_1)
	s_or_b32 exec_lo, exec_lo, s1
	s_clause 0x1
	global_load_b64 v[34:35], v11, s[2:3] offset:40
	global_load_b128 v[26:29], v11, s[2:3]
	v_readfirstlane_b32 s12, v32
	v_readfirstlane_b32 s13, v33
	s_mov_b32 s1, exec_lo
	s_wait_loadcnt 0x1
	v_and_b32_e32 v34, s12, v34
	v_and_b32_e32 v35, s13, v35
	s_delay_alu instid0(VALU_DEP_1) | instskip(SKIP_1) | instid1(VALU_DEP_1)
	v_mul_u64_e32 v[32:33], 24, v[34:35]
	s_wait_loadcnt 0x0
	v_add_nc_u64_e32 v[32:33], v[26:27], v[32:33]
	s_wait_xcnt 0x0
	s_and_saveexec_b32 s14, s0
	s_cbranch_execz .LBB1_174
; %bb.173:                              ;   in Loop: Header=BB1_117 Depth=1
	v_mov_b32_e32 v10, s1
	global_store_b128 v[32:33], v[10:13], off offset:8
.LBB1_174:                              ;   in Loop: Header=BB1_117 Depth=1
	s_wait_xcnt 0x0
	s_or_b32 exec_lo, exec_lo, s14
	v_cmp_lt_u64_e64 vcc_lo, s[6:7], 57
	v_lshlrev_b64_e32 v[34:35], 12, v[34:35]
	v_and_b32_e32 v6, 0xffffff1f, v6
	s_lshl_b32 s1, s10, 2
	s_delay_alu instid0(SALU_CYCLE_1) | instskip(SKIP_1) | instid1(VALU_DEP_3)
	s_add_co_i32 s1, s1, 28
	v_cndmask_b32_e32 v3, 0, v2, vcc_lo
	v_add_nc_u64_e32 v[28:29], v[28:29], v[34:35]
	s_delay_alu instid0(VALU_DEP_2) | instskip(NEXT) | instid1(VALU_DEP_2)
	v_or_b32_e32 v3, v6, v3
	v_readfirstlane_b32 s14, v28
	s_delay_alu instid0(VALU_DEP_3) | instskip(NEXT) | instid1(VALU_DEP_3)
	v_readfirstlane_b32 s15, v29
	v_and_or_b32 v6, 0x1e0, s1, v3
	s_clause 0x3
	global_store_b128 v30, v[6:9], s[14:15]
	global_store_b128 v30, v[14:17], s[14:15] offset:16
	global_store_b128 v30, v[18:21], s[14:15] offset:32
	;; [unrolled: 1-line block ×3, first 2 shown]
	s_wait_xcnt 0x0
	s_and_saveexec_b32 s1, s0
	s_cbranch_execz .LBB1_182
; %bb.175:                              ;   in Loop: Header=BB1_117 Depth=1
	s_clause 0x1
	global_load_b64 v[18:19], v11, s[2:3] offset:32 scope:SCOPE_SYS
	global_load_b64 v[6:7], v11, s[2:3] offset:40
	s_mov_b32 s14, exec_lo
	v_dual_mov_b32 v16, s12 :: v_dual_mov_b32 v17, s13
	s_wait_loadcnt 0x0
	v_and_b32_e32 v7, s13, v7
	v_and_b32_e32 v6, s12, v6
	s_delay_alu instid0(VALU_DEP_1) | instskip(NEXT) | instid1(VALU_DEP_1)
	v_mul_u64_e32 v[6:7], 24, v[6:7]
	v_add_nc_u64_e32 v[14:15], v[26:27], v[6:7]
	global_store_b64 v[14:15], v[18:19], off
	global_wb scope:SCOPE_SYS
	s_wait_storecnt 0x0
	s_wait_xcnt 0x0
	global_atomic_cmpswap_b64 v[8:9], v11, v[16:19], s[2:3] offset:32 th:TH_ATOMIC_RETURN scope:SCOPE_SYS
	s_wait_loadcnt 0x0
	v_cmpx_ne_u64_e64 v[8:9], v[18:19]
	s_cbranch_execz .LBB1_178
; %bb.176:                              ;   in Loop: Header=BB1_117 Depth=1
	s_mov_b32 s15, 0
.LBB1_177:                              ;   Parent Loop BB1_117 Depth=1
                                        ; =>  This Inner Loop Header: Depth=2
	v_dual_mov_b32 v6, s12 :: v_dual_mov_b32 v7, s13
	s_sleep 1
	global_store_b64 v[14:15], v[8:9], off
	global_wb scope:SCOPE_SYS
	s_wait_storecnt 0x0
	s_wait_xcnt 0x0
	global_atomic_cmpswap_b64 v[6:7], v11, v[6:9], s[2:3] offset:32 th:TH_ATOMIC_RETURN scope:SCOPE_SYS
	s_wait_loadcnt 0x0
	v_cmp_eq_u64_e32 vcc_lo, v[6:7], v[8:9]
	v_mov_b64_e32 v[8:9], v[6:7]
	s_or_b32 s15, vcc_lo, s15
	s_delay_alu instid0(SALU_CYCLE_1)
	s_and_not1_b32 exec_lo, exec_lo, s15
	s_cbranch_execnz .LBB1_177
.LBB1_178:                              ;   in Loop: Header=BB1_117 Depth=1
	s_or_b32 exec_lo, exec_lo, s14
	global_load_b64 v[6:7], v11, s[2:3] offset:16
	s_mov_b32 s15, exec_lo
	s_mov_b32 s14, exec_lo
	v_mbcnt_lo_u32_b32 v3, s15, 0
	s_wait_xcnt 0x0
	s_delay_alu instid0(VALU_DEP_1)
	v_cmpx_eq_u32_e32 0, v3
	s_cbranch_execz .LBB1_180
; %bb.179:                              ;   in Loop: Header=BB1_117 Depth=1
	s_bcnt1_i32_b32 s15, s15
	s_delay_alu instid0(SALU_CYCLE_1)
	v_mov_b32_e32 v10, s15
	global_wb scope:SCOPE_SYS
	s_wait_loadcnt 0x0
	s_wait_storecnt 0x0
	global_atomic_add_u64 v[6:7], v[10:11], off offset:8 scope:SCOPE_SYS
.LBB1_180:                              ;   in Loop: Header=BB1_117 Depth=1
	s_wait_xcnt 0x0
	s_or_b32 exec_lo, exec_lo, s14
	s_wait_loadcnt 0x0
	global_load_b64 v[8:9], v[6:7], off offset:16
	s_wait_loadcnt 0x0
	v_cmp_eq_u64_e32 vcc_lo, 0, v[8:9]
	s_cbranch_vccnz .LBB1_182
; %bb.181:                              ;   in Loop: Header=BB1_117 Depth=1
	global_load_b32 v10, v[6:7], off offset:24
	s_wait_loadcnt 0x0
	v_readfirstlane_b32 s14, v10
	global_wb scope:SCOPE_SYS
	s_wait_storecnt 0x0
	s_wait_xcnt 0x0
	global_store_b64 v[8:9], v[10:11], off scope:SCOPE_SYS
	s_and_b32 m0, s14, 0xffffff
	s_sendmsg sendmsg(MSG_INTERRUPT)
.LBB1_182:                              ;   in Loop: Header=BB1_117 Depth=1
	s_wait_xcnt 0x0
	s_or_b32 exec_lo, exec_lo, s1
	v_mov_b32_e32 v31, v11
	s_delay_alu instid0(VALU_DEP_1)
	v_add_nc_u64_e32 v[6:7], v[28:29], v[30:31]
	s_branch .LBB1_186
.LBB1_183:                              ;   in Loop: Header=BB1_186 Depth=2
	s_wait_xcnt 0x0
	s_or_b32 exec_lo, exec_lo, s1
	s_delay_alu instid0(VALU_DEP_1)
	v_readfirstlane_b32 s1, v3
	s_cmp_eq_u32 s1, 0
	s_cbranch_scc1 .LBB1_185
; %bb.184:                              ;   in Loop: Header=BB1_186 Depth=2
	s_sleep 1
	s_cbranch_execnz .LBB1_186
	s_branch .LBB1_188
.LBB1_185:                              ;   in Loop: Header=BB1_117 Depth=1
	s_branch .LBB1_188
.LBB1_186:                              ;   Parent Loop BB1_117 Depth=1
                                        ; =>  This Inner Loop Header: Depth=2
	v_mov_b32_e32 v3, 1
	s_and_saveexec_b32 s1, s0
	s_cbranch_execz .LBB1_183
; %bb.187:                              ;   in Loop: Header=BB1_186 Depth=2
	global_load_b32 v3, v[32:33], off offset:20 scope:SCOPE_SYS
	s_wait_loadcnt 0x0
	global_inv scope:SCOPE_SYS
	v_and_b32_e32 v3, 1, v3
	s_branch .LBB1_183
.LBB1_188:                              ;   in Loop: Header=BB1_117 Depth=1
	global_load_b64 v[6:7], v[6:7], off
	s_wait_xcnt 0x0
	s_and_saveexec_b32 s14, s0
	s_cbranch_execz .LBB1_116
; %bb.189:                              ;   in Loop: Header=BB1_117 Depth=1
	s_clause 0x2
	global_load_b64 v[8:9], v11, s[2:3] offset:40
	global_load_b64 v[18:19], v11, s[2:3] offset:24 scope:SCOPE_SYS
	global_load_b64 v[14:15], v11, s[2:3]
	s_wait_loadcnt 0x2
	v_readfirstlane_b32 s16, v8
	v_readfirstlane_b32 s17, v9
	s_add_nc_u64 s[0:1], s[16:17], 1
	s_delay_alu instid0(SALU_CYCLE_1) | instskip(NEXT) | instid1(SALU_CYCLE_1)
	s_add_nc_u64 s[12:13], s[0:1], s[12:13]
	s_cmp_eq_u64 s[12:13], 0
	s_cselect_b32 s1, s1, s13
	s_cselect_b32 s0, s0, s12
	s_delay_alu instid0(SALU_CYCLE_1) | instskip(SKIP_1) | instid1(SALU_CYCLE_1)
	v_dual_mov_b32 v17, s1 :: v_dual_mov_b32 v16, s0
	s_and_b64 s[12:13], s[0:1], s[16:17]
	s_mul_u64 s[12:13], s[12:13], 24
	s_wait_loadcnt 0x0
	v_add_nc_u64_e32 v[8:9], s[12:13], v[14:15]
	global_store_b64 v[8:9], v[18:19], off
	global_wb scope:SCOPE_SYS
	s_wait_storecnt 0x0
	s_wait_xcnt 0x0
	global_atomic_cmpswap_b64 v[16:17], v11, v[16:19], s[2:3] offset:24 th:TH_ATOMIC_RETURN scope:SCOPE_SYS
	s_wait_loadcnt 0x0
	v_cmp_ne_u64_e32 vcc_lo, v[16:17], v[18:19]
	s_and_b32 exec_lo, exec_lo, vcc_lo
	s_cbranch_execz .LBB1_116
; %bb.190:                              ;   in Loop: Header=BB1_117 Depth=1
	s_mov_b32 s12, 0
.LBB1_191:                              ;   Parent Loop BB1_117 Depth=1
                                        ; =>  This Inner Loop Header: Depth=2
	v_dual_mov_b32 v14, s0 :: v_dual_mov_b32 v15, s1
	s_sleep 1
	global_store_b64 v[8:9], v[16:17], off
	global_wb scope:SCOPE_SYS
	s_wait_storecnt 0x0
	s_wait_xcnt 0x0
	global_atomic_cmpswap_b64 v[14:15], v11, v[14:17], s[2:3] offset:24 th:TH_ATOMIC_RETURN scope:SCOPE_SYS
	s_wait_loadcnt 0x0
	v_cmp_eq_u64_e32 vcc_lo, v[14:15], v[16:17]
	v_mov_b64_e32 v[16:17], v[14:15]
	s_or_b32 s12, vcc_lo, s12
	s_delay_alu instid0(SALU_CYCLE_1)
	s_and_not1_b32 exec_lo, exec_lo, s12
	s_cbranch_execnz .LBB1_191
	s_branch .LBB1_116
.LBB1_192:
	s_or_b32 exec_lo, exec_lo, s6
	s_branch .LBB1_114
.LBB1_193:
	v_readfirstlane_b32 s0, v48
	v_mov_b64_e32 v[8:9], 0
	s_delay_alu instid0(VALU_DEP_2)
	v_cmp_eq_u32_e64 s0, s0, v48
	s_and_saveexec_b32 s1, s0
	s_cbranch_execz .LBB1_199
; %bb.194:
	s_wait_loadcnt 0x0
	v_mov_b32_e32 v0, 0
	s_mov_b32 s4, exec_lo
	global_load_b64 v[10:11], v0, s[2:3] offset:24 scope:SCOPE_SYS
	s_wait_loadcnt 0x0
	global_inv scope:SCOPE_SYS
	s_clause 0x1
	global_load_b64 v[2:3], v0, s[2:3] offset:40
	global_load_b64 v[8:9], v0, s[2:3]
	s_wait_loadcnt 0x1
	v_and_b32_e32 v2, v2, v10
	v_and_b32_e32 v3, v3, v11
	s_delay_alu instid0(VALU_DEP_1) | instskip(SKIP_1) | instid1(VALU_DEP_1)
	v_mul_u64_e32 v[2:3], 24, v[2:3]
	s_wait_loadcnt 0x0
	v_add_nc_u64_e32 v[2:3], v[8:9], v[2:3]
	global_load_b64 v[8:9], v[2:3], off scope:SCOPE_SYS
	s_wait_xcnt 0x0
	s_wait_loadcnt 0x0
	global_atomic_cmpswap_b64 v[8:9], v0, v[8:11], s[2:3] offset:24 th:TH_ATOMIC_RETURN scope:SCOPE_SYS
	s_wait_loadcnt 0x0
	global_inv scope:SCOPE_SYS
	s_wait_xcnt 0x0
	v_cmpx_ne_u64_e64 v[8:9], v[10:11]
	s_cbranch_execz .LBB1_198
; %bb.195:
	s_mov_b32 s5, 0
.LBB1_196:                              ; =>This Inner Loop Header: Depth=1
	s_sleep 1
	s_clause 0x1
	global_load_b64 v[2:3], v0, s[2:3] offset:40
	global_load_b64 v[12:13], v0, s[2:3]
	v_mov_b64_e32 v[10:11], v[8:9]
	s_wait_loadcnt 0x1
	s_delay_alu instid0(VALU_DEP_1) | instskip(SKIP_1) | instid1(VALU_DEP_1)
	v_and_b32_e32 v1, v2, v10
	s_wait_loadcnt 0x0
	v_mad_nc_u64_u32 v[8:9], v1, 24, v[12:13]
	s_delay_alu instid0(VALU_DEP_3) | instskip(NEXT) | instid1(VALU_DEP_1)
	v_and_b32_e32 v1, v3, v11
	v_mad_u32 v9, v1, 24, v9
	global_load_b64 v[8:9], v[8:9], off scope:SCOPE_SYS
	s_wait_xcnt 0x0
	s_wait_loadcnt 0x0
	global_atomic_cmpswap_b64 v[8:9], v0, v[8:11], s[2:3] offset:24 th:TH_ATOMIC_RETURN scope:SCOPE_SYS
	s_wait_loadcnt 0x0
	global_inv scope:SCOPE_SYS
	v_cmp_eq_u64_e32 vcc_lo, v[8:9], v[10:11]
	s_or_b32 s5, vcc_lo, s5
	s_wait_xcnt 0x0
	s_and_not1_b32 exec_lo, exec_lo, s5
	s_cbranch_execnz .LBB1_196
; %bb.197:
	s_or_b32 exec_lo, exec_lo, s5
.LBB1_198:
	s_delay_alu instid0(SALU_CYCLE_1)
	s_or_b32 exec_lo, exec_lo, s4
.LBB1_199:
	s_delay_alu instid0(SALU_CYCLE_1)
	s_or_b32 exec_lo, exec_lo, s1
	v_readfirstlane_b32 s4, v8
	v_mov_b32_e32 v31, 0
	v_readfirstlane_b32 s5, v9
	s_mov_b32 s1, exec_lo
	global_load_b64 v[10:11], v31, s[2:3] offset:40
	s_wait_loadcnt 0x1
	global_load_b128 v[0:3], v31, s[2:3]
	s_wait_loadcnt 0x1
	v_and_b32_e32 v8, s4, v10
	v_and_b32_e32 v9, s5, v11
	s_delay_alu instid0(VALU_DEP_1) | instskip(SKIP_1) | instid1(VALU_DEP_1)
	v_mul_u64_e32 v[10:11], 24, v[8:9]
	s_wait_loadcnt 0x0
	v_add_nc_u64_e32 v[10:11], v[0:1], v[10:11]
	s_wait_xcnt 0x0
	s_and_saveexec_b32 s6, s0
	s_cbranch_execz .LBB1_201
; %bb.200:
	v_mov_b64_e32 v[14:15], 0x100000002
	v_dual_mov_b32 v12, s1 :: v_dual_mov_b32 v13, v31
	global_store_b128 v[10:11], v[12:15], off offset:8
.LBB1_201:
	s_wait_xcnt 0x0
	s_or_b32 exec_lo, exec_lo, s6
	v_lshlrev_b64_e32 v[8:9], 12, v[8:9]
	s_mov_b32 s12, 0
	v_and_or_b32 v6, 0xffffff1f, v6, 32
	s_mov_b32 s14, s12
	s_mov_b32 s15, s12
	;; [unrolled: 1-line block ×3, first 2 shown]
	v_mov_b64_e32 v[16:17], s[14:15]
	v_add_nc_u64_e32 v[12:13], v[2:3], v[8:9]
	v_mov_b64_e32 v[14:15], s[12:13]
	v_dual_mov_b32 v8, v31 :: v_dual_mov_b32 v9, v31
	s_delay_alu instid0(VALU_DEP_3) | instskip(NEXT) | instid1(VALU_DEP_4)
	v_readfirstlane_b32 s6, v12
	v_readfirstlane_b32 s7, v13
	s_clause 0x3
	global_store_b128 v30, v[6:9], s[6:7]
	global_store_b128 v30, v[14:17], s[6:7] offset:16
	global_store_b128 v30, v[14:17], s[6:7] offset:32
	;; [unrolled: 1-line block ×3, first 2 shown]
	s_wait_xcnt 0x0
	s_and_saveexec_b32 s1, s0
	s_cbranch_execz .LBB1_209
; %bb.202:
	v_dual_mov_b32 v8, 0 :: v_dual_mov_b32 v15, s5
	s_mov_b32 s6, exec_lo
	s_clause 0x1
	global_load_b64 v[16:17], v8, s[2:3] offset:32 scope:SCOPE_SYS
	global_load_b64 v[2:3], v8, s[2:3] offset:40
	s_wait_loadcnt 0x0
	v_dual_mov_b32 v14, s4 :: v_dual_bitop2_b32 v3, s5, v3 bitop3:0x40
	v_and_b32_e32 v2, s4, v2
	s_delay_alu instid0(VALU_DEP_1) | instskip(NEXT) | instid1(VALU_DEP_1)
	v_mul_u64_e32 v[2:3], 24, v[2:3]
	v_add_nc_u64_e32 v[6:7], v[0:1], v[2:3]
	global_store_b64 v[6:7], v[16:17], off
	global_wb scope:SCOPE_SYS
	s_wait_storecnt 0x0
	s_wait_xcnt 0x0
	global_atomic_cmpswap_b64 v[2:3], v8, v[14:17], s[2:3] offset:32 th:TH_ATOMIC_RETURN scope:SCOPE_SYS
	s_wait_loadcnt 0x0
	v_cmpx_ne_u64_e64 v[2:3], v[16:17]
	s_cbranch_execz .LBB1_205
; %bb.203:
	s_mov_b32 s7, 0
.LBB1_204:                              ; =>This Inner Loop Header: Depth=1
	v_dual_mov_b32 v0, s4 :: v_dual_mov_b32 v1, s5
	s_sleep 1
	global_store_b64 v[6:7], v[2:3], off
	global_wb scope:SCOPE_SYS
	s_wait_storecnt 0x0
	s_wait_xcnt 0x0
	global_atomic_cmpswap_b64 v[0:1], v8, v[0:3], s[2:3] offset:32 th:TH_ATOMIC_RETURN scope:SCOPE_SYS
	s_wait_loadcnt 0x0
	v_cmp_eq_u64_e32 vcc_lo, v[0:1], v[2:3]
	v_mov_b64_e32 v[2:3], v[0:1]
	s_or_b32 s7, vcc_lo, s7
	s_delay_alu instid0(SALU_CYCLE_1)
	s_and_not1_b32 exec_lo, exec_lo, s7
	s_cbranch_execnz .LBB1_204
.LBB1_205:
	s_or_b32 exec_lo, exec_lo, s6
	v_mov_b32_e32 v3, 0
	s_mov_b32 s7, exec_lo
	s_mov_b32 s6, exec_lo
	v_mbcnt_lo_u32_b32 v2, s7, 0
	global_load_b64 v[0:1], v3, s[2:3] offset:16
	s_wait_xcnt 0x0
	v_cmpx_eq_u32_e32 0, v2
	s_cbranch_execz .LBB1_207
; %bb.206:
	s_bcnt1_i32_b32 s7, s7
	s_delay_alu instid0(SALU_CYCLE_1)
	v_mov_b32_e32 v2, s7
	global_wb scope:SCOPE_SYS
	s_wait_loadcnt 0x0
	s_wait_storecnt 0x0
	global_atomic_add_u64 v[0:1], v[2:3], off offset:8 scope:SCOPE_SYS
.LBB1_207:
	s_wait_xcnt 0x0
	s_or_b32 exec_lo, exec_lo, s6
	s_wait_loadcnt 0x0
	global_load_b64 v[2:3], v[0:1], off offset:16
	s_wait_loadcnt 0x0
	v_cmp_eq_u64_e32 vcc_lo, 0, v[2:3]
	s_cbranch_vccnz .LBB1_209
; %bb.208:
	global_load_b32 v0, v[0:1], off offset:24
	s_wait_xcnt 0x0
	v_mov_b32_e32 v1, 0
	s_wait_loadcnt 0x0
	v_readfirstlane_b32 s6, v0
	global_wb scope:SCOPE_SYS
	s_wait_storecnt 0x0
	global_store_b64 v[2:3], v[0:1], off scope:SCOPE_SYS
	s_and_b32 m0, s6, 0xffffff
	s_sendmsg sendmsg(MSG_INTERRUPT)
.LBB1_209:
	s_wait_xcnt 0x0
	s_or_b32 exec_lo, exec_lo, s1
	v_add_nc_u64_e32 v[0:1], v[12:13], v[30:31]
	s_branch .LBB1_213
.LBB1_210:                              ;   in Loop: Header=BB1_213 Depth=1
	s_wait_xcnt 0x0
	s_or_b32 exec_lo, exec_lo, s1
	s_delay_alu instid0(VALU_DEP_1)
	v_readfirstlane_b32 s1, v2
	s_cmp_eq_u32 s1, 0
	s_cbranch_scc1 .LBB1_212
; %bb.211:                              ;   in Loop: Header=BB1_213 Depth=1
	s_sleep 1
	s_cbranch_execnz .LBB1_213
	s_branch .LBB1_216
.LBB1_212:
	s_branch .LBB1_216
.LBB1_213:                              ; =>This Inner Loop Header: Depth=1
	v_mov_b32_e32 v2, 1
	s_and_saveexec_b32 s1, s0
	s_cbranch_execz .LBB1_210
; %bb.214:                              ;   in Loop: Header=BB1_213 Depth=1
	global_load_b32 v2, v[10:11], off offset:20 scope:SCOPE_SYS
	s_wait_loadcnt 0x0
	global_inv scope:SCOPE_SYS
	v_and_b32_e32 v2, 1, v2
	s_branch .LBB1_210
.LBB1_215:
	s_branch .LBB1_249
.LBB1_216:
	global_load_b64 v[0:1], v[0:1], off
	s_wait_xcnt 0x0
	s_and_saveexec_b32 s6, s0
	s_cbranch_execz .LBB1_220
; %bb.217:
	v_mov_b32_e32 v10, 0
	s_clause 0x2
	global_load_b64 v[2:3], v10, s[2:3] offset:40
	global_load_b64 v[14:15], v10, s[2:3] offset:24 scope:SCOPE_SYS
	global_load_b64 v[6:7], v10, s[2:3]
	s_wait_loadcnt 0x2
	v_readfirstlane_b32 s10, v2
	v_readfirstlane_b32 s11, v3
	s_add_nc_u64 s[0:1], s[10:11], 1
	s_delay_alu instid0(SALU_CYCLE_1) | instskip(NEXT) | instid1(SALU_CYCLE_1)
	s_add_nc_u64 s[4:5], s[0:1], s[4:5]
	s_cmp_eq_u64 s[4:5], 0
	s_cselect_b32 s1, s1, s5
	s_cselect_b32 s0, s0, s4
	v_mov_b32_e32 v13, s1
	s_and_b64 s[4:5], s[0:1], s[10:11]
	v_mov_b32_e32 v12, s0
	s_mul_u64 s[4:5], s[4:5], 24
	s_wait_loadcnt 0x0
	v_add_nc_u64_e32 v[2:3], s[4:5], v[6:7]
	global_store_b64 v[2:3], v[14:15], off
	global_wb scope:SCOPE_SYS
	s_wait_storecnt 0x0
	s_wait_xcnt 0x0
	global_atomic_cmpswap_b64 v[8:9], v10, v[12:15], s[2:3] offset:24 th:TH_ATOMIC_RETURN scope:SCOPE_SYS
	s_wait_loadcnt 0x0
	v_cmp_ne_u64_e32 vcc_lo, v[8:9], v[14:15]
	s_and_b32 exec_lo, exec_lo, vcc_lo
	s_cbranch_execz .LBB1_220
; %bb.218:
	s_mov_b32 s4, 0
.LBB1_219:                              ; =>This Inner Loop Header: Depth=1
	v_dual_mov_b32 v6, s0 :: v_dual_mov_b32 v7, s1
	s_sleep 1
	global_store_b64 v[2:3], v[8:9], off
	global_wb scope:SCOPE_SYS
	s_wait_storecnt 0x0
	s_wait_xcnt 0x0
	global_atomic_cmpswap_b64 v[6:7], v10, v[6:9], s[2:3] offset:24 th:TH_ATOMIC_RETURN scope:SCOPE_SYS
	s_wait_loadcnt 0x0
	v_cmp_eq_u64_e32 vcc_lo, v[6:7], v[8:9]
	v_mov_b64_e32 v[8:9], v[6:7]
	s_or_b32 s4, vcc_lo, s4
	s_delay_alu instid0(SALU_CYCLE_1)
	s_and_not1_b32 exec_lo, exec_lo, s4
	s_cbranch_execnz .LBB1_219
.LBB1_220:
	s_or_b32 exec_lo, exec_lo, s6
	s_get_pc_i64 s[4:5]
	s_add_nc_u64 s[4:5], s[4:5], .str.4@rel64+4
	s_delay_alu instid0(SALU_CYCLE_1)
	s_cmp_lg_u64 s[4:5], 0
	s_cbranch_scc1 .LBB1_115
.LBB1_221:
                                        ; implicit-def: $vgpr6_vgpr7
	s_cbranch_execz .LBB1_249
; %bb.222:
	v_readfirstlane_b32 s0, v48
	v_mov_b64_e32 v[2:3], 0
	s_delay_alu instid0(VALU_DEP_2)
	v_cmp_eq_u32_e64 s0, s0, v48
	s_and_saveexec_b32 s1, s0
	s_cbranch_execz .LBB1_228
; %bb.223:
	s_wait_loadcnt 0x0
	v_mov_b32_e32 v6, 0
	s_mov_b32 s4, exec_lo
	global_load_b64 v[10:11], v6, s[2:3] offset:24 scope:SCOPE_SYS
	s_wait_loadcnt 0x0
	global_inv scope:SCOPE_SYS
	s_clause 0x1
	global_load_b64 v[2:3], v6, s[2:3] offset:40
	global_load_b64 v[8:9], v6, s[2:3]
	s_wait_loadcnt 0x1
	v_and_b32_e32 v2, v2, v10
	v_and_b32_e32 v3, v3, v11
	s_delay_alu instid0(VALU_DEP_1) | instskip(SKIP_1) | instid1(VALU_DEP_1)
	v_mul_u64_e32 v[2:3], 24, v[2:3]
	s_wait_loadcnt 0x0
	v_add_nc_u64_e32 v[2:3], v[8:9], v[2:3]
	global_load_b64 v[8:9], v[2:3], off scope:SCOPE_SYS
	s_wait_xcnt 0x0
	s_wait_loadcnt 0x0
	global_atomic_cmpswap_b64 v[2:3], v6, v[8:11], s[2:3] offset:24 th:TH_ATOMIC_RETURN scope:SCOPE_SYS
	s_wait_loadcnt 0x0
	global_inv scope:SCOPE_SYS
	s_wait_xcnt 0x0
	v_cmpx_ne_u64_e64 v[2:3], v[10:11]
	s_cbranch_execz .LBB1_227
; %bb.224:
	s_mov_b32 s5, 0
.LBB1_225:                              ; =>This Inner Loop Header: Depth=1
	s_sleep 1
	s_clause 0x1
	global_load_b64 v[8:9], v6, s[2:3] offset:40
	global_load_b64 v[12:13], v6, s[2:3]
	v_mov_b64_e32 v[10:11], v[2:3]
	s_wait_loadcnt 0x1
	s_delay_alu instid0(VALU_DEP_1) | instskip(NEXT) | instid1(VALU_DEP_2)
	v_and_b32_e32 v2, v8, v10
	v_and_b32_e32 v7, v9, v11
	s_wait_loadcnt 0x0
	s_delay_alu instid0(VALU_DEP_2) | instskip(NEXT) | instid1(VALU_DEP_1)
	v_mad_nc_u64_u32 v[2:3], v2, 24, v[12:13]
	v_mad_u32 v3, v7, 24, v3
	global_load_b64 v[8:9], v[2:3], off scope:SCOPE_SYS
	s_wait_xcnt 0x0
	s_wait_loadcnt 0x0
	global_atomic_cmpswap_b64 v[2:3], v6, v[8:11], s[2:3] offset:24 th:TH_ATOMIC_RETURN scope:SCOPE_SYS
	s_wait_loadcnt 0x0
	global_inv scope:SCOPE_SYS
	v_cmp_eq_u64_e32 vcc_lo, v[2:3], v[10:11]
	s_or_b32 s5, vcc_lo, s5
	s_wait_xcnt 0x0
	s_and_not1_b32 exec_lo, exec_lo, s5
	s_cbranch_execnz .LBB1_225
; %bb.226:
	s_or_b32 exec_lo, exec_lo, s5
.LBB1_227:
	s_delay_alu instid0(SALU_CYCLE_1)
	s_or_b32 exec_lo, exec_lo, s4
.LBB1_228:
	s_delay_alu instid0(SALU_CYCLE_1)
	s_or_b32 exec_lo, exec_lo, s1
	v_readfirstlane_b32 s4, v2
	v_mov_b32_e32 v31, 0
	v_readfirstlane_b32 s5, v3
	s_mov_b32 s1, exec_lo
	global_load_b64 v[10:11], v31, s[2:3] offset:40
	s_wait_loadcnt 0x1
	global_load_b128 v[6:9], v31, s[2:3]
	s_wait_loadcnt 0x1
	v_and_b32_e32 v2, s4, v10
	v_and_b32_e32 v3, s5, v11
	s_delay_alu instid0(VALU_DEP_1) | instskip(SKIP_1) | instid1(VALU_DEP_1)
	v_mul_u64_e32 v[10:11], 24, v[2:3]
	s_wait_loadcnt 0x0
	v_add_nc_u64_e32 v[10:11], v[6:7], v[10:11]
	s_wait_xcnt 0x0
	s_and_saveexec_b32 s6, s0
	s_cbranch_execz .LBB1_230
; %bb.229:
	v_mov_b64_e32 v[14:15], 0x100000002
	v_dual_mov_b32 v12, s1 :: v_dual_mov_b32 v13, v31
	global_store_b128 v[10:11], v[12:15], off offset:8
.LBB1_230:
	s_wait_xcnt 0x0
	s_or_b32 exec_lo, exec_lo, s6
	v_lshlrev_b64_e32 v[2:3], 12, v[2:3]
	s_mov_b32 s12, 0
	v_and_or_b32 v0, 0xffffff1f, v0, 32
	s_mov_b32 s13, s12
	s_mov_b32 s14, s12
	;; [unrolled: 1-line block ×3, first 2 shown]
	v_mov_b64_e32 v[12:13], s[12:13]
	v_add_nc_u64_e32 v[8:9], v[8:9], v[2:3]
	v_mov_b64_e32 v[14:15], s[14:15]
	v_dual_mov_b32 v2, v31 :: v_dual_mov_b32 v3, v31
	s_delay_alu instid0(VALU_DEP_3) | instskip(NEXT) | instid1(VALU_DEP_4)
	v_readfirstlane_b32 s6, v8
	v_readfirstlane_b32 s7, v9
	s_clause 0x3
	global_store_b128 v30, v[0:3], s[6:7]
	global_store_b128 v30, v[12:15], s[6:7] offset:16
	global_store_b128 v30, v[12:15], s[6:7] offset:32
	;; [unrolled: 1-line block ×3, first 2 shown]
	s_wait_xcnt 0x0
	s_and_saveexec_b32 s1, s0
	s_cbranch_execz .LBB1_238
; %bb.231:
	v_dual_mov_b32 v12, 0 :: v_dual_mov_b32 v15, s5
	s_mov_b32 s6, exec_lo
	s_clause 0x1
	global_load_b64 v[16:17], v12, s[2:3] offset:32 scope:SCOPE_SYS
	global_load_b64 v[0:1], v12, s[2:3] offset:40
	s_wait_loadcnt 0x0
	v_dual_mov_b32 v14, s4 :: v_dual_bitop2_b32 v1, s5, v1 bitop3:0x40
	v_and_b32_e32 v0, s4, v0
	s_delay_alu instid0(VALU_DEP_1) | instskip(NEXT) | instid1(VALU_DEP_1)
	v_mul_u64_e32 v[0:1], 24, v[0:1]
	v_add_nc_u64_e32 v[6:7], v[6:7], v[0:1]
	global_store_b64 v[6:7], v[16:17], off
	global_wb scope:SCOPE_SYS
	s_wait_storecnt 0x0
	s_wait_xcnt 0x0
	global_atomic_cmpswap_b64 v[2:3], v12, v[14:17], s[2:3] offset:32 th:TH_ATOMIC_RETURN scope:SCOPE_SYS
	s_wait_loadcnt 0x0
	v_cmpx_ne_u64_e64 v[2:3], v[16:17]
	s_cbranch_execz .LBB1_234
; %bb.232:
	s_mov_b32 s7, 0
.LBB1_233:                              ; =>This Inner Loop Header: Depth=1
	v_dual_mov_b32 v0, s4 :: v_dual_mov_b32 v1, s5
	s_sleep 1
	global_store_b64 v[6:7], v[2:3], off
	global_wb scope:SCOPE_SYS
	s_wait_storecnt 0x0
	s_wait_xcnt 0x0
	global_atomic_cmpswap_b64 v[0:1], v12, v[0:3], s[2:3] offset:32 th:TH_ATOMIC_RETURN scope:SCOPE_SYS
	s_wait_loadcnt 0x0
	v_cmp_eq_u64_e32 vcc_lo, v[0:1], v[2:3]
	v_mov_b64_e32 v[2:3], v[0:1]
	s_or_b32 s7, vcc_lo, s7
	s_delay_alu instid0(SALU_CYCLE_1)
	s_and_not1_b32 exec_lo, exec_lo, s7
	s_cbranch_execnz .LBB1_233
.LBB1_234:
	s_or_b32 exec_lo, exec_lo, s6
	v_mov_b32_e32 v3, 0
	s_mov_b32 s7, exec_lo
	s_mov_b32 s6, exec_lo
	v_mbcnt_lo_u32_b32 v2, s7, 0
	global_load_b64 v[0:1], v3, s[2:3] offset:16
	s_wait_xcnt 0x0
	v_cmpx_eq_u32_e32 0, v2
	s_cbranch_execz .LBB1_236
; %bb.235:
	s_bcnt1_i32_b32 s7, s7
	s_delay_alu instid0(SALU_CYCLE_1)
	v_mov_b32_e32 v2, s7
	global_wb scope:SCOPE_SYS
	s_wait_loadcnt 0x0
	s_wait_storecnt 0x0
	global_atomic_add_u64 v[0:1], v[2:3], off offset:8 scope:SCOPE_SYS
.LBB1_236:
	s_wait_xcnt 0x0
	s_or_b32 exec_lo, exec_lo, s6
	s_wait_loadcnt 0x0
	global_load_b64 v[2:3], v[0:1], off offset:16
	s_wait_loadcnt 0x0
	v_cmp_eq_u64_e32 vcc_lo, 0, v[2:3]
	s_cbranch_vccnz .LBB1_238
; %bb.237:
	global_load_b32 v0, v[0:1], off offset:24
	s_wait_xcnt 0x0
	v_mov_b32_e32 v1, 0
	s_wait_loadcnt 0x0
	v_readfirstlane_b32 s6, v0
	global_wb scope:SCOPE_SYS
	s_wait_storecnt 0x0
	global_store_b64 v[2:3], v[0:1], off scope:SCOPE_SYS
	s_and_b32 m0, s6, 0xffffff
	s_sendmsg sendmsg(MSG_INTERRUPT)
.LBB1_238:
	s_wait_xcnt 0x0
	s_or_b32 exec_lo, exec_lo, s1
	v_add_nc_u64_e32 v[0:1], v[8:9], v[30:31]
	s_branch .LBB1_242
.LBB1_239:                              ;   in Loop: Header=BB1_242 Depth=1
	s_wait_xcnt 0x0
	s_or_b32 exec_lo, exec_lo, s1
	s_delay_alu instid0(VALU_DEP_1)
	v_readfirstlane_b32 s1, v2
	s_cmp_eq_u32 s1, 0
	s_cbranch_scc1 .LBB1_241
; %bb.240:                              ;   in Loop: Header=BB1_242 Depth=1
	s_sleep 1
	s_cbranch_execnz .LBB1_242
	s_branch .LBB1_244
.LBB1_241:
	s_branch .LBB1_244
.LBB1_242:                              ; =>This Inner Loop Header: Depth=1
	v_mov_b32_e32 v2, 1
	s_and_saveexec_b32 s1, s0
	s_cbranch_execz .LBB1_239
; %bb.243:                              ;   in Loop: Header=BB1_242 Depth=1
	global_load_b32 v2, v[10:11], off offset:20 scope:SCOPE_SYS
	s_wait_loadcnt 0x0
	global_inv scope:SCOPE_SYS
	v_and_b32_e32 v2, 1, v2
	s_branch .LBB1_239
.LBB1_244:
	global_load_b64 v[6:7], v[0:1], off
	s_wait_xcnt 0x0
	s_and_saveexec_b32 s6, s0
	s_cbranch_execz .LBB1_248
; %bb.245:
	v_mov_b32_e32 v10, 0
	s_clause 0x2
	global_load_b64 v[0:1], v10, s[2:3] offset:40
	global_load_b64 v[14:15], v10, s[2:3] offset:24 scope:SCOPE_SYS
	global_load_b64 v[2:3], v10, s[2:3]
	s_wait_loadcnt 0x2
	v_readfirstlane_b32 s10, v0
	v_readfirstlane_b32 s11, v1
	s_add_nc_u64 s[0:1], s[10:11], 1
	s_delay_alu instid0(SALU_CYCLE_1) | instskip(NEXT) | instid1(SALU_CYCLE_1)
	s_add_nc_u64 s[4:5], s[0:1], s[4:5]
	s_cmp_eq_u64 s[4:5], 0
	s_cselect_b32 s1, s1, s5
	s_cselect_b32 s0, s0, s4
	v_mov_b32_e32 v13, s1
	s_and_b64 s[4:5], s[0:1], s[10:11]
	v_mov_b32_e32 v12, s0
	s_mul_u64 s[4:5], s[4:5], 24
	s_wait_loadcnt 0x0
	v_add_nc_u64_e32 v[8:9], s[4:5], v[2:3]
	global_store_b64 v[8:9], v[14:15], off
	global_wb scope:SCOPE_SYS
	s_wait_storecnt 0x0
	s_wait_xcnt 0x0
	global_atomic_cmpswap_b64 v[2:3], v10, v[12:15], s[2:3] offset:24 th:TH_ATOMIC_RETURN scope:SCOPE_SYS
	s_wait_loadcnt 0x0
	v_cmp_ne_u64_e32 vcc_lo, v[2:3], v[14:15]
	s_and_b32 exec_lo, exec_lo, vcc_lo
	s_cbranch_execz .LBB1_248
; %bb.246:
	s_mov_b32 s4, 0
.LBB1_247:                              ; =>This Inner Loop Header: Depth=1
	v_dual_mov_b32 v0, s0 :: v_dual_mov_b32 v1, s1
	s_sleep 1
	global_store_b64 v[8:9], v[2:3], off
	global_wb scope:SCOPE_SYS
	s_wait_storecnt 0x0
	s_wait_xcnt 0x0
	global_atomic_cmpswap_b64 v[0:1], v10, v[0:3], s[2:3] offset:24 th:TH_ATOMIC_RETURN scope:SCOPE_SYS
	s_wait_loadcnt 0x0
	v_cmp_eq_u64_e32 vcc_lo, v[0:1], v[2:3]
	v_mov_b64_e32 v[2:3], v[0:1]
	s_or_b32 s4, vcc_lo, s4
	s_delay_alu instid0(SALU_CYCLE_1)
	s_and_not1_b32 exec_lo, exec_lo, s4
	s_cbranch_execnz .LBB1_247
.LBB1_248:
	s_or_b32 exec_lo, exec_lo, s6
.LBB1_249:
	v_readfirstlane_b32 s0, v48
	v_mov_b64_e32 v[8:9], 0
	s_delay_alu instid0(VALU_DEP_2)
	v_cmp_eq_u32_e64 s0, s0, v48
	s_and_saveexec_b32 s1, s0
	s_cbranch_execz .LBB1_255
; %bb.250:
	s_wait_loadcnt 0x0
	v_mov_b32_e32 v0, 0
	s_mov_b32 s4, exec_lo
	global_load_b64 v[10:11], v0, s[2:3] offset:24 scope:SCOPE_SYS
	s_wait_loadcnt 0x0
	global_inv scope:SCOPE_SYS
	s_clause 0x1
	global_load_b64 v[2:3], v0, s[2:3] offset:40
	global_load_b64 v[8:9], v0, s[2:3]
	s_wait_loadcnt 0x1
	v_and_b32_e32 v2, v2, v10
	v_and_b32_e32 v3, v3, v11
	s_delay_alu instid0(VALU_DEP_1) | instskip(SKIP_1) | instid1(VALU_DEP_1)
	v_mul_u64_e32 v[2:3], 24, v[2:3]
	s_wait_loadcnt 0x0
	v_add_nc_u64_e32 v[2:3], v[8:9], v[2:3]
	global_load_b64 v[8:9], v[2:3], off scope:SCOPE_SYS
	s_wait_xcnt 0x0
	s_wait_loadcnt 0x0
	global_atomic_cmpswap_b64 v[8:9], v0, v[8:11], s[2:3] offset:24 th:TH_ATOMIC_RETURN scope:SCOPE_SYS
	s_wait_loadcnt 0x0
	global_inv scope:SCOPE_SYS
	s_wait_xcnt 0x0
	v_cmpx_ne_u64_e64 v[8:9], v[10:11]
	s_cbranch_execz .LBB1_254
; %bb.251:
	s_mov_b32 s5, 0
.LBB1_252:                              ; =>This Inner Loop Header: Depth=1
	s_sleep 1
	s_clause 0x1
	global_load_b64 v[2:3], v0, s[2:3] offset:40
	global_load_b64 v[12:13], v0, s[2:3]
	v_mov_b64_e32 v[10:11], v[8:9]
	s_wait_loadcnt 0x1
	s_delay_alu instid0(VALU_DEP_1) | instskip(SKIP_1) | instid1(VALU_DEP_1)
	v_and_b32_e32 v1, v2, v10
	s_wait_loadcnt 0x0
	v_mad_nc_u64_u32 v[8:9], v1, 24, v[12:13]
	s_delay_alu instid0(VALU_DEP_3) | instskip(NEXT) | instid1(VALU_DEP_1)
	v_and_b32_e32 v1, v3, v11
	v_mad_u32 v9, v1, 24, v9
	global_load_b64 v[8:9], v[8:9], off scope:SCOPE_SYS
	s_wait_xcnt 0x0
	s_wait_loadcnt 0x0
	global_atomic_cmpswap_b64 v[8:9], v0, v[8:11], s[2:3] offset:24 th:TH_ATOMIC_RETURN scope:SCOPE_SYS
	s_wait_loadcnt 0x0
	global_inv scope:SCOPE_SYS
	v_cmp_eq_u64_e32 vcc_lo, v[8:9], v[10:11]
	s_or_b32 s5, vcc_lo, s5
	s_wait_xcnt 0x0
	s_and_not1_b32 exec_lo, exec_lo, s5
	s_cbranch_execnz .LBB1_252
; %bb.253:
	s_or_b32 exec_lo, exec_lo, s5
.LBB1_254:
	s_delay_alu instid0(SALU_CYCLE_1)
	s_or_b32 exec_lo, exec_lo, s4
.LBB1_255:
	s_delay_alu instid0(SALU_CYCLE_1)
	s_or_b32 exec_lo, exec_lo, s1
	v_readfirstlane_b32 s4, v8
	v_mov_b32_e32 v31, 0
	v_readfirstlane_b32 s5, v9
	s_mov_b32 s1, exec_lo
	global_load_b64 v[10:11], v31, s[2:3] offset:40
	s_wait_loadcnt 0x1
	global_load_b128 v[0:3], v31, s[2:3]
	s_wait_loadcnt 0x1
	v_and_b32_e32 v8, s4, v10
	v_and_b32_e32 v9, s5, v11
	s_delay_alu instid0(VALU_DEP_1) | instskip(SKIP_1) | instid1(VALU_DEP_1)
	v_mul_u64_e32 v[10:11], 24, v[8:9]
	s_wait_loadcnt 0x0
	v_add_nc_u64_e32 v[10:11], v[0:1], v[10:11]
	s_wait_xcnt 0x0
	s_and_saveexec_b32 s6, s0
	s_cbranch_execz .LBB1_257
; %bb.256:
	v_mov_b64_e32 v[14:15], 0x100000002
	v_dual_mov_b32 v12, s1 :: v_dual_mov_b32 v13, v31
	global_store_b128 v[10:11], v[12:15], off offset:8
.LBB1_257:
	s_wait_xcnt 0x0
	s_or_b32 exec_lo, exec_lo, s6
	v_lshlrev_b64_e32 v[8:9], 12, v[8:9]
	s_mov_b32 s12, 0
	v_and_or_b32 v6, 0xffffff1f, v6, 32
	s_mov_b32 s14, s12
	s_mov_b32 s15, s12
	s_mov_b32 s13, s12
	v_mov_b64_e32 v[16:17], s[14:15]
	v_add_nc_u64_e32 v[12:13], v[2:3], v[8:9]
	v_mov_b64_e32 v[14:15], s[12:13]
	v_dual_mov_b32 v8, 0x331 :: v_dual_mov_b32 v9, v31
	s_delay_alu instid0(VALU_DEP_3) | instskip(NEXT) | instid1(VALU_DEP_4)
	v_readfirstlane_b32 s6, v12
	v_readfirstlane_b32 s7, v13
	s_clause 0x3
	global_store_b128 v30, v[6:9], s[6:7]
	global_store_b128 v30, v[14:17], s[6:7] offset:16
	global_store_b128 v30, v[14:17], s[6:7] offset:32
	;; [unrolled: 1-line block ×3, first 2 shown]
	s_wait_xcnt 0x0
	s_and_saveexec_b32 s1, s0
	s_cbranch_execz .LBB1_265
; %bb.258:
	v_dual_mov_b32 v8, 0 :: v_dual_mov_b32 v15, s5
	s_mov_b32 s6, exec_lo
	s_clause 0x1
	global_load_b64 v[16:17], v8, s[2:3] offset:32 scope:SCOPE_SYS
	global_load_b64 v[2:3], v8, s[2:3] offset:40
	s_wait_loadcnt 0x0
	v_dual_mov_b32 v14, s4 :: v_dual_bitop2_b32 v3, s5, v3 bitop3:0x40
	v_and_b32_e32 v2, s4, v2
	s_delay_alu instid0(VALU_DEP_1) | instskip(NEXT) | instid1(VALU_DEP_1)
	v_mul_u64_e32 v[2:3], 24, v[2:3]
	v_add_nc_u64_e32 v[6:7], v[0:1], v[2:3]
	global_store_b64 v[6:7], v[16:17], off
	global_wb scope:SCOPE_SYS
	s_wait_storecnt 0x0
	s_wait_xcnt 0x0
	global_atomic_cmpswap_b64 v[2:3], v8, v[14:17], s[2:3] offset:32 th:TH_ATOMIC_RETURN scope:SCOPE_SYS
	s_wait_loadcnt 0x0
	v_cmpx_ne_u64_e64 v[2:3], v[16:17]
	s_cbranch_execz .LBB1_261
; %bb.259:
	s_mov_b32 s7, 0
.LBB1_260:                              ; =>This Inner Loop Header: Depth=1
	v_dual_mov_b32 v0, s4 :: v_dual_mov_b32 v1, s5
	s_sleep 1
	global_store_b64 v[6:7], v[2:3], off
	global_wb scope:SCOPE_SYS
	s_wait_storecnt 0x0
	s_wait_xcnt 0x0
	global_atomic_cmpswap_b64 v[0:1], v8, v[0:3], s[2:3] offset:32 th:TH_ATOMIC_RETURN scope:SCOPE_SYS
	s_wait_loadcnt 0x0
	v_cmp_eq_u64_e32 vcc_lo, v[0:1], v[2:3]
	v_mov_b64_e32 v[2:3], v[0:1]
	s_or_b32 s7, vcc_lo, s7
	s_delay_alu instid0(SALU_CYCLE_1)
	s_and_not1_b32 exec_lo, exec_lo, s7
	s_cbranch_execnz .LBB1_260
.LBB1_261:
	s_or_b32 exec_lo, exec_lo, s6
	v_mov_b32_e32 v3, 0
	s_mov_b32 s7, exec_lo
	s_mov_b32 s6, exec_lo
	v_mbcnt_lo_u32_b32 v2, s7, 0
	global_load_b64 v[0:1], v3, s[2:3] offset:16
	s_wait_xcnt 0x0
	v_cmpx_eq_u32_e32 0, v2
	s_cbranch_execz .LBB1_263
; %bb.262:
	s_bcnt1_i32_b32 s7, s7
	s_delay_alu instid0(SALU_CYCLE_1)
	v_mov_b32_e32 v2, s7
	global_wb scope:SCOPE_SYS
	s_wait_loadcnt 0x0
	s_wait_storecnt 0x0
	global_atomic_add_u64 v[0:1], v[2:3], off offset:8 scope:SCOPE_SYS
.LBB1_263:
	s_wait_xcnt 0x0
	s_or_b32 exec_lo, exec_lo, s6
	s_wait_loadcnt 0x0
	global_load_b64 v[2:3], v[0:1], off offset:16
	s_wait_loadcnt 0x0
	v_cmp_eq_u64_e32 vcc_lo, 0, v[2:3]
	s_cbranch_vccnz .LBB1_265
; %bb.264:
	global_load_b32 v0, v[0:1], off offset:24
	s_wait_xcnt 0x0
	v_mov_b32_e32 v1, 0
	s_wait_loadcnt 0x0
	v_readfirstlane_b32 s6, v0
	global_wb scope:SCOPE_SYS
	s_wait_storecnt 0x0
	global_store_b64 v[2:3], v[0:1], off scope:SCOPE_SYS
	s_and_b32 m0, s6, 0xffffff
	s_sendmsg sendmsg(MSG_INTERRUPT)
.LBB1_265:
	s_wait_xcnt 0x0
	s_or_b32 exec_lo, exec_lo, s1
	v_add_nc_u64_e32 v[0:1], v[12:13], v[30:31]
	s_branch .LBB1_269
.LBB1_266:                              ;   in Loop: Header=BB1_269 Depth=1
	s_wait_xcnt 0x0
	s_or_b32 exec_lo, exec_lo, s1
	s_delay_alu instid0(VALU_DEP_1)
	v_readfirstlane_b32 s1, v2
	s_cmp_eq_u32 s1, 0
	s_cbranch_scc1 .LBB1_268
; %bb.267:                              ;   in Loop: Header=BB1_269 Depth=1
	s_sleep 1
	s_cbranch_execnz .LBB1_269
	s_branch .LBB1_271
.LBB1_268:
	s_branch .LBB1_271
.LBB1_269:                              ; =>This Inner Loop Header: Depth=1
	v_mov_b32_e32 v2, 1
	s_and_saveexec_b32 s1, s0
	s_cbranch_execz .LBB1_266
; %bb.270:                              ;   in Loop: Header=BB1_269 Depth=1
	global_load_b32 v2, v[10:11], off offset:20 scope:SCOPE_SYS
	s_wait_loadcnt 0x0
	global_inv scope:SCOPE_SYS
	v_and_b32_e32 v2, 1, v2
	s_branch .LBB1_266
.LBB1_271:
	global_load_b64 v[0:1], v[0:1], off
	s_wait_xcnt 0x0
	s_and_saveexec_b32 s6, s0
	s_cbranch_execz .LBB1_275
; %bb.272:
	v_mov_b32_e32 v10, 0
	s_clause 0x2
	global_load_b64 v[2:3], v10, s[2:3] offset:40
	global_load_b64 v[14:15], v10, s[2:3] offset:24 scope:SCOPE_SYS
	global_load_b64 v[6:7], v10, s[2:3]
	s_wait_loadcnt 0x2
	v_readfirstlane_b32 s10, v2
	v_readfirstlane_b32 s11, v3
	s_add_nc_u64 s[0:1], s[10:11], 1
	s_delay_alu instid0(SALU_CYCLE_1) | instskip(NEXT) | instid1(SALU_CYCLE_1)
	s_add_nc_u64 s[4:5], s[0:1], s[4:5]
	s_cmp_eq_u64 s[4:5], 0
	s_cselect_b32 s1, s1, s5
	s_cselect_b32 s0, s0, s4
	v_mov_b32_e32 v13, s1
	s_and_b64 s[4:5], s[0:1], s[10:11]
	v_mov_b32_e32 v12, s0
	s_mul_u64 s[4:5], s[4:5], 24
	s_wait_loadcnt 0x0
	v_add_nc_u64_e32 v[2:3], s[4:5], v[6:7]
	global_store_b64 v[2:3], v[14:15], off
	global_wb scope:SCOPE_SYS
	s_wait_storecnt 0x0
	s_wait_xcnt 0x0
	global_atomic_cmpswap_b64 v[8:9], v10, v[12:15], s[2:3] offset:24 th:TH_ATOMIC_RETURN scope:SCOPE_SYS
	s_wait_loadcnt 0x0
	v_cmp_ne_u64_e32 vcc_lo, v[8:9], v[14:15]
	s_and_b32 exec_lo, exec_lo, vcc_lo
	s_cbranch_execz .LBB1_275
; %bb.273:
	s_mov_b32 s4, 0
.LBB1_274:                              ; =>This Inner Loop Header: Depth=1
	v_dual_mov_b32 v6, s0 :: v_dual_mov_b32 v7, s1
	s_sleep 1
	global_store_b64 v[2:3], v[8:9], off
	global_wb scope:SCOPE_SYS
	s_wait_storecnt 0x0
	s_wait_xcnt 0x0
	global_atomic_cmpswap_b64 v[6:7], v10, v[6:9], s[2:3] offset:24 th:TH_ATOMIC_RETURN scope:SCOPE_SYS
	s_wait_loadcnt 0x0
	v_cmp_eq_u64_e32 vcc_lo, v[6:7], v[8:9]
	v_mov_b64_e32 v[8:9], v[6:7]
	s_or_b32 s4, vcc_lo, s4
	s_delay_alu instid0(SALU_CYCLE_1)
	s_and_not1_b32 exec_lo, exec_lo, s4
	s_cbranch_execnz .LBB1_274
.LBB1_275:
	s_or_b32 exec_lo, exec_lo, s6
	v_mov_b64_e32 v[2:3], v[4:5]
	s_mov_b32 s0, 0
.LBB1_276:                              ; =>This Inner Loop Header: Depth=1
	global_load_u8 v6, v[2:3], off
	s_wait_xcnt 0x0
	v_add_nc_u64_e32 v[2:3], 1, v[2:3]
	s_wait_loadcnt 0x0
	v_cmp_eq_u16_e32 vcc_lo, 0, v6
	s_or_b32 s0, vcc_lo, s0
	s_delay_alu instid0(SALU_CYCLE_1)
	s_and_not1_b32 exec_lo, exec_lo, s0
	s_cbranch_execnz .LBB1_276
; %bb.277:
	s_or_b32 exec_lo, exec_lo, s0
	s_delay_alu instid0(SALU_CYCLE_1)
	s_mov_b32 s0, exec_lo
	v_cmpx_ne_u64_e32 0, v[4:5]
	s_xor_b32 s6, exec_lo, s0
	s_cbranch_execz .LBB1_363
; %bb.278:
	v_dual_mov_b32 v31, 0 :: v_dual_sub_nc_u32 v26, v2, v4
	v_mov_b64_e32 v[8:9], 0x100000002
	v_and_b32_e32 v28, 2, v0
	s_delay_alu instid0(VALU_DEP_3)
	v_dual_ashrrev_i32 v27, 31, v26 :: v_dual_bitop2_b32 v0, -3, v0 bitop3:0x40
	s_mov_b32 s10, 0
	s_mov_b32 s7, 0
	s_branch .LBB1_280
.LBB1_279:                              ;   in Loop: Header=BB1_280 Depth=1
	s_or_b32 exec_lo, exec_lo, s11
	v_sub_nc_u64_e32 v[26:27], v[26:27], v[32:33]
	v_add_nc_u64_e32 v[4:5], v[4:5], v[32:33]
	s_delay_alu instid0(VALU_DEP_2) | instskip(SKIP_1) | instid1(SALU_CYCLE_1)
	v_cmp_eq_u64_e32 vcc_lo, 0, v[26:27]
	s_or_b32 s7, vcc_lo, s7
	s_and_not1_b32 exec_lo, exec_lo, s7
	s_cbranch_execz .LBB1_362
.LBB1_280:                              ; =>This Loop Header: Depth=1
                                        ;     Child Loop BB1_283 Depth 2
                                        ;     Child Loop BB1_291 Depth 2
	;; [unrolled: 1-line block ×11, first 2 shown]
	s_delay_alu instid0(VALU_DEP_1) | instskip(NEXT) | instid1(VALU_DEP_3)
	v_min_u64 v[32:33], v[26:27], 56
	v_add_nc_u64_e32 v[12:13], 8, v[4:5]
	s_mov_b32 s0, exec_lo
	v_cmpx_gt_u64_e32 8, v[26:27]
	s_xor_b32 s4, exec_lo, s0
	s_cbranch_execz .LBB1_286
; %bb.281:                              ;   in Loop: Header=BB1_280 Depth=1
	v_mov_b64_e32 v[2:3], 0
	s_mov_b32 s5, exec_lo
	v_cmpx_ne_u64_e32 0, v[26:27]
	s_cbranch_execz .LBB1_285
; %bb.282:                              ;   in Loop: Header=BB1_280 Depth=1
	v_mov_b64_e32 v[2:3], 0
	v_mov_b64_e32 v[10:11], v[4:5]
	v_lshlrev_b32_e32 v6, 3, v32
	s_mov_b64 s[0:1], 0
	s_mov_b32 s11, 0
.LBB1_283:                              ;   Parent Loop BB1_280 Depth=1
                                        ; =>  This Inner Loop Header: Depth=2
	global_load_u8 v7, v[10:11], off
	v_mov_b32_e32 v13, s10
	s_wait_xcnt 0x0
	v_add_nc_u64_e32 v[10:11], 1, v[10:11]
	s_wait_loadcnt 0x0
	v_and_b32_e32 v12, 0xffff, v7
	s_delay_alu instid0(VALU_DEP_1) | instskip(SKIP_1) | instid1(SALU_CYCLE_1)
	v_lshlrev_b64_e32 v[12:13], s0, v[12:13]
	s_add_nc_u64 s[0:1], s[0:1], 8
	v_cmp_eq_u32_e32 vcc_lo, s0, v6
	s_delay_alu instid0(VALU_DEP_2) | instskip(NEXT) | instid1(VALU_DEP_3)
	v_or_b32_e32 v3, v13, v3
	v_or_b32_e32 v2, v12, v2
	s_or_b32 s11, vcc_lo, s11
	s_delay_alu instid0(SALU_CYCLE_1)
	s_and_not1_b32 exec_lo, exec_lo, s11
	s_cbranch_execnz .LBB1_283
; %bb.284:                              ;   in Loop: Header=BB1_280 Depth=1
	s_or_b32 exec_lo, exec_lo, s11
.LBB1_285:                              ;   in Loop: Header=BB1_280 Depth=1
	s_delay_alu instid0(SALU_CYCLE_1)
	s_or_b32 exec_lo, exec_lo, s5
	v_mov_b64_e32 v[12:13], v[4:5]
.LBB1_286:                              ;   in Loop: Header=BB1_280 Depth=1
	s_or_saveexec_b32 s0, s4
	v_mov_b32_e32 v14, 0
	s_xor_b32 exec_lo, exec_lo, s0
	s_cbranch_execz .LBB1_288
; %bb.287:                              ;   in Loop: Header=BB1_280 Depth=1
	global_load_b64 v[2:3], v[4:5], off
	v_add_nc_u32_e32 v14, -8, v32
.LBB1_288:                              ;   in Loop: Header=BB1_280 Depth=1
	s_wait_xcnt 0x0
	s_or_b32 exec_lo, exec_lo, s0
	v_add_nc_u64_e32 v[6:7], 8, v[12:13]
                                        ; implicit-def: $vgpr10_vgpr11
	s_mov_b32 s0, exec_lo
	v_cmpx_gt_u32_e32 8, v14
	s_xor_b32 s11, exec_lo, s0
	s_cbranch_execz .LBB1_294
; %bb.289:                              ;   in Loop: Header=BB1_280 Depth=1
	v_mov_b64_e32 v[10:11], 0
	s_mov_b32 s12, exec_lo
	v_cmpx_ne_u32_e32 0, v14
	s_cbranch_execz .LBB1_293
; %bb.290:                              ;   in Loop: Header=BB1_280 Depth=1
	v_mov_b64_e32 v[10:11], 0
	s_mov_b64 s[0:1], 0
	s_mov_b32 s13, 0
	s_mov_b64 s[4:5], 0
.LBB1_291:                              ;   Parent Loop BB1_280 Depth=1
                                        ; =>  This Inner Loop Header: Depth=2
	s_delay_alu instid0(SALU_CYCLE_1) | instskip(SKIP_1) | instid1(SALU_CYCLE_1)
	v_add_nc_u64_e32 v[6:7], s[4:5], v[12:13]
	s_add_nc_u64 s[4:5], s[4:5], 1
	v_cmp_eq_u32_e32 vcc_lo, s4, v14
	global_load_u8 v6, v[6:7], off
	s_wait_xcnt 0x0
	v_mov_b32_e32 v7, s10
	s_or_b32 s13, vcc_lo, s13
	s_wait_loadcnt 0x0
	v_and_b32_e32 v6, 0xffff, v6
	s_delay_alu instid0(VALU_DEP_1) | instskip(SKIP_1) | instid1(VALU_DEP_1)
	v_lshlrev_b64_e32 v[6:7], s0, v[6:7]
	s_add_nc_u64 s[0:1], s[0:1], 8
	v_or_b32_e32 v11, v7, v11
	s_delay_alu instid0(VALU_DEP_2)
	v_or_b32_e32 v10, v6, v10
	s_and_not1_b32 exec_lo, exec_lo, s13
	s_cbranch_execnz .LBB1_291
; %bb.292:                              ;   in Loop: Header=BB1_280 Depth=1
	s_or_b32 exec_lo, exec_lo, s13
.LBB1_293:                              ;   in Loop: Header=BB1_280 Depth=1
	s_delay_alu instid0(SALU_CYCLE_1)
	s_or_b32 exec_lo, exec_lo, s12
	v_mov_b64_e32 v[6:7], v[12:13]
                                        ; implicit-def: $vgpr14
.LBB1_294:                              ;   in Loop: Header=BB1_280 Depth=1
	s_or_saveexec_b32 s0, s11
	v_mov_b32_e32 v15, 0
	s_xor_b32 exec_lo, exec_lo, s0
	s_cbranch_execz .LBB1_296
; %bb.295:                              ;   in Loop: Header=BB1_280 Depth=1
	global_load_b64 v[10:11], v[12:13], off
	v_add_nc_u32_e32 v15, -8, v14
.LBB1_296:                              ;   in Loop: Header=BB1_280 Depth=1
	s_wait_xcnt 0x0
	s_or_b32 exec_lo, exec_lo, s0
	v_add_nc_u64_e32 v[16:17], 8, v[6:7]
	s_mov_b32 s0, exec_lo
	v_cmpx_gt_u32_e32 8, v15
	s_xor_b32 s11, exec_lo, s0
	s_cbranch_execz .LBB1_302
; %bb.297:                              ;   in Loop: Header=BB1_280 Depth=1
	v_mov_b64_e32 v[12:13], 0
	s_mov_b32 s12, exec_lo
	v_cmpx_ne_u32_e32 0, v15
	s_cbranch_execz .LBB1_301
; %bb.298:                              ;   in Loop: Header=BB1_280 Depth=1
	v_mov_b64_e32 v[12:13], 0
	s_mov_b64 s[0:1], 0
	s_mov_b32 s13, 0
	s_mov_b64 s[4:5], 0
.LBB1_299:                              ;   Parent Loop BB1_280 Depth=1
                                        ; =>  This Inner Loop Header: Depth=2
	s_delay_alu instid0(SALU_CYCLE_1) | instskip(SKIP_1) | instid1(SALU_CYCLE_1)
	v_add_nc_u64_e32 v[16:17], s[4:5], v[6:7]
	s_add_nc_u64 s[4:5], s[4:5], 1
	v_cmp_eq_u32_e32 vcc_lo, s4, v15
	global_load_u8 v14, v[16:17], off
	s_wait_xcnt 0x0
	v_mov_b32_e32 v17, s10
	s_or_b32 s13, vcc_lo, s13
	s_wait_loadcnt 0x0
	v_and_b32_e32 v16, 0xffff, v14
	s_delay_alu instid0(VALU_DEP_1) | instskip(SKIP_1) | instid1(VALU_DEP_1)
	v_lshlrev_b64_e32 v[16:17], s0, v[16:17]
	s_add_nc_u64 s[0:1], s[0:1], 8
	v_or_b32_e32 v13, v17, v13
	s_delay_alu instid0(VALU_DEP_2)
	v_or_b32_e32 v12, v16, v12
	s_and_not1_b32 exec_lo, exec_lo, s13
	s_cbranch_execnz .LBB1_299
; %bb.300:                              ;   in Loop: Header=BB1_280 Depth=1
	s_or_b32 exec_lo, exec_lo, s13
.LBB1_301:                              ;   in Loop: Header=BB1_280 Depth=1
	s_delay_alu instid0(SALU_CYCLE_1)
	s_or_b32 exec_lo, exec_lo, s12
	v_mov_b64_e32 v[16:17], v[6:7]
                                        ; implicit-def: $vgpr15
.LBB1_302:                              ;   in Loop: Header=BB1_280 Depth=1
	s_or_saveexec_b32 s0, s11
	v_mov_b32_e32 v18, 0
	s_xor_b32 exec_lo, exec_lo, s0
	s_cbranch_execz .LBB1_304
; %bb.303:                              ;   in Loop: Header=BB1_280 Depth=1
	global_load_b64 v[12:13], v[6:7], off
	v_add_nc_u32_e32 v18, -8, v15
.LBB1_304:                              ;   in Loop: Header=BB1_280 Depth=1
	s_wait_xcnt 0x0
	s_or_b32 exec_lo, exec_lo, s0
	v_add_nc_u64_e32 v[6:7], 8, v[16:17]
                                        ; implicit-def: $vgpr14_vgpr15
	s_mov_b32 s0, exec_lo
	v_cmpx_gt_u32_e32 8, v18
	s_xor_b32 s11, exec_lo, s0
	s_cbranch_execz .LBB1_310
; %bb.305:                              ;   in Loop: Header=BB1_280 Depth=1
	v_mov_b64_e32 v[14:15], 0
	s_mov_b32 s12, exec_lo
	v_cmpx_ne_u32_e32 0, v18
	s_cbranch_execz .LBB1_309
; %bb.306:                              ;   in Loop: Header=BB1_280 Depth=1
	v_mov_b64_e32 v[14:15], 0
	s_mov_b64 s[0:1], 0
	s_mov_b32 s13, 0
	s_mov_b64 s[4:5], 0
.LBB1_307:                              ;   Parent Loop BB1_280 Depth=1
                                        ; =>  This Inner Loop Header: Depth=2
	s_delay_alu instid0(SALU_CYCLE_1) | instskip(SKIP_1) | instid1(SALU_CYCLE_1)
	v_add_nc_u64_e32 v[6:7], s[4:5], v[16:17]
	s_add_nc_u64 s[4:5], s[4:5], 1
	v_cmp_eq_u32_e32 vcc_lo, s4, v18
	global_load_u8 v6, v[6:7], off
	s_wait_xcnt 0x0
	v_mov_b32_e32 v7, s10
	s_or_b32 s13, vcc_lo, s13
	s_wait_loadcnt 0x0
	v_and_b32_e32 v6, 0xffff, v6
	s_delay_alu instid0(VALU_DEP_1) | instskip(SKIP_1) | instid1(VALU_DEP_1)
	v_lshlrev_b64_e32 v[6:7], s0, v[6:7]
	s_add_nc_u64 s[0:1], s[0:1], 8
	v_or_b32_e32 v15, v7, v15
	s_delay_alu instid0(VALU_DEP_2)
	v_or_b32_e32 v14, v6, v14
	s_and_not1_b32 exec_lo, exec_lo, s13
	s_cbranch_execnz .LBB1_307
; %bb.308:                              ;   in Loop: Header=BB1_280 Depth=1
	s_or_b32 exec_lo, exec_lo, s13
.LBB1_309:                              ;   in Loop: Header=BB1_280 Depth=1
	s_delay_alu instid0(SALU_CYCLE_1)
	s_or_b32 exec_lo, exec_lo, s12
	v_mov_b64_e32 v[6:7], v[16:17]
                                        ; implicit-def: $vgpr18
.LBB1_310:                              ;   in Loop: Header=BB1_280 Depth=1
	s_or_saveexec_b32 s0, s11
	v_mov_b32_e32 v19, 0
	s_xor_b32 exec_lo, exec_lo, s0
	s_cbranch_execz .LBB1_312
; %bb.311:                              ;   in Loop: Header=BB1_280 Depth=1
	global_load_b64 v[14:15], v[16:17], off
	v_add_nc_u32_e32 v19, -8, v18
.LBB1_312:                              ;   in Loop: Header=BB1_280 Depth=1
	s_wait_xcnt 0x0
	s_or_b32 exec_lo, exec_lo, s0
	v_add_nc_u64_e32 v[20:21], 8, v[6:7]
	s_mov_b32 s0, exec_lo
	v_cmpx_gt_u32_e32 8, v19
	s_xor_b32 s11, exec_lo, s0
	s_cbranch_execz .LBB1_318
; %bb.313:                              ;   in Loop: Header=BB1_280 Depth=1
	v_mov_b64_e32 v[16:17], 0
	s_mov_b32 s12, exec_lo
	v_cmpx_ne_u32_e32 0, v19
	s_cbranch_execz .LBB1_317
; %bb.314:                              ;   in Loop: Header=BB1_280 Depth=1
	v_mov_b64_e32 v[16:17], 0
	s_mov_b64 s[0:1], 0
	s_mov_b32 s13, 0
	s_mov_b64 s[4:5], 0
.LBB1_315:                              ;   Parent Loop BB1_280 Depth=1
                                        ; =>  This Inner Loop Header: Depth=2
	s_delay_alu instid0(SALU_CYCLE_1) | instskip(SKIP_1) | instid1(SALU_CYCLE_1)
	v_add_nc_u64_e32 v[20:21], s[4:5], v[6:7]
	s_add_nc_u64 s[4:5], s[4:5], 1
	v_cmp_eq_u32_e32 vcc_lo, s4, v19
	global_load_u8 v18, v[20:21], off
	s_wait_xcnt 0x0
	v_mov_b32_e32 v21, s10
	s_or_b32 s13, vcc_lo, s13
	s_wait_loadcnt 0x0
	v_and_b32_e32 v20, 0xffff, v18
	s_delay_alu instid0(VALU_DEP_1) | instskip(SKIP_1) | instid1(VALU_DEP_1)
	v_lshlrev_b64_e32 v[20:21], s0, v[20:21]
	s_add_nc_u64 s[0:1], s[0:1], 8
	v_or_b32_e32 v17, v21, v17
	s_delay_alu instid0(VALU_DEP_2)
	v_or_b32_e32 v16, v20, v16
	s_and_not1_b32 exec_lo, exec_lo, s13
	s_cbranch_execnz .LBB1_315
; %bb.316:                              ;   in Loop: Header=BB1_280 Depth=1
	s_or_b32 exec_lo, exec_lo, s13
.LBB1_317:                              ;   in Loop: Header=BB1_280 Depth=1
	s_delay_alu instid0(SALU_CYCLE_1)
	s_or_b32 exec_lo, exec_lo, s12
	v_mov_b64_e32 v[20:21], v[6:7]
                                        ; implicit-def: $vgpr19
.LBB1_318:                              ;   in Loop: Header=BB1_280 Depth=1
	s_or_saveexec_b32 s0, s11
	v_mov_b32_e32 v22, 0
	s_xor_b32 exec_lo, exec_lo, s0
	s_cbranch_execz .LBB1_320
; %bb.319:                              ;   in Loop: Header=BB1_280 Depth=1
	global_load_b64 v[16:17], v[6:7], off
	v_add_nc_u32_e32 v22, -8, v19
.LBB1_320:                              ;   in Loop: Header=BB1_280 Depth=1
	s_wait_xcnt 0x0
	s_or_b32 exec_lo, exec_lo, s0
	v_add_nc_u64_e32 v[6:7], 8, v[20:21]
                                        ; implicit-def: $vgpr18_vgpr19
	s_mov_b32 s0, exec_lo
	v_cmpx_gt_u32_e32 8, v22
	s_xor_b32 s11, exec_lo, s0
	s_cbranch_execz .LBB1_326
; %bb.321:                              ;   in Loop: Header=BB1_280 Depth=1
	v_mov_b64_e32 v[18:19], 0
	s_mov_b32 s12, exec_lo
	v_cmpx_ne_u32_e32 0, v22
	s_cbranch_execz .LBB1_325
; %bb.322:                              ;   in Loop: Header=BB1_280 Depth=1
	v_mov_b64_e32 v[18:19], 0
	s_mov_b64 s[0:1], 0
	s_mov_b32 s13, 0
	s_mov_b64 s[4:5], 0
.LBB1_323:                              ;   Parent Loop BB1_280 Depth=1
                                        ; =>  This Inner Loop Header: Depth=2
	s_delay_alu instid0(SALU_CYCLE_1) | instskip(SKIP_1) | instid1(SALU_CYCLE_1)
	v_add_nc_u64_e32 v[6:7], s[4:5], v[20:21]
	s_add_nc_u64 s[4:5], s[4:5], 1
	v_cmp_eq_u32_e32 vcc_lo, s4, v22
	global_load_u8 v6, v[6:7], off
	s_wait_xcnt 0x0
	v_mov_b32_e32 v7, s10
	s_or_b32 s13, vcc_lo, s13
	s_wait_loadcnt 0x0
	v_and_b32_e32 v6, 0xffff, v6
	s_delay_alu instid0(VALU_DEP_1) | instskip(SKIP_1) | instid1(VALU_DEP_1)
	v_lshlrev_b64_e32 v[6:7], s0, v[6:7]
	s_add_nc_u64 s[0:1], s[0:1], 8
	v_or_b32_e32 v19, v7, v19
	s_delay_alu instid0(VALU_DEP_2)
	v_or_b32_e32 v18, v6, v18
	s_and_not1_b32 exec_lo, exec_lo, s13
	s_cbranch_execnz .LBB1_323
; %bb.324:                              ;   in Loop: Header=BB1_280 Depth=1
	s_or_b32 exec_lo, exec_lo, s13
.LBB1_325:                              ;   in Loop: Header=BB1_280 Depth=1
	s_delay_alu instid0(SALU_CYCLE_1)
	s_or_b32 exec_lo, exec_lo, s12
	v_mov_b64_e32 v[6:7], v[20:21]
                                        ; implicit-def: $vgpr22
.LBB1_326:                              ;   in Loop: Header=BB1_280 Depth=1
	s_or_saveexec_b32 s0, s11
	v_mov_b32_e32 v23, 0
	s_xor_b32 exec_lo, exec_lo, s0
	s_cbranch_execz .LBB1_328
; %bb.327:                              ;   in Loop: Header=BB1_280 Depth=1
	global_load_b64 v[18:19], v[20:21], off
	v_add_nc_u32_e32 v23, -8, v22
.LBB1_328:                              ;   in Loop: Header=BB1_280 Depth=1
	s_wait_xcnt 0x0
	s_or_b32 exec_lo, exec_lo, s0
	s_delay_alu instid0(SALU_CYCLE_1) | instskip(NEXT) | instid1(VALU_DEP_1)
	s_mov_b32 s0, exec_lo
	v_cmpx_gt_u32_e32 8, v23
	s_xor_b32 s4, exec_lo, s0
	s_cbranch_execz .LBB1_334
; %bb.329:                              ;   in Loop: Header=BB1_280 Depth=1
	v_mov_b64_e32 v[20:21], 0
	s_mov_b32 s5, exec_lo
	v_cmpx_ne_u32_e32 0, v23
	s_cbranch_execz .LBB1_333
; %bb.330:                              ;   in Loop: Header=BB1_280 Depth=1
	v_mov_b64_e32 v[20:21], 0
	s_mov_b64 s[0:1], 0
	s_mov_b32 s11, 0
.LBB1_331:                              ;   Parent Loop BB1_280 Depth=1
                                        ; =>  This Inner Loop Header: Depth=2
	global_load_u8 v22, v[6:7], off
	v_dual_mov_b32 v25, s10 :: v_dual_add_nc_u32 v23, -1, v23
	s_wait_xcnt 0x0
	v_add_nc_u64_e32 v[6:7], 1, v[6:7]
	s_delay_alu instid0(VALU_DEP_2) | instskip(SKIP_3) | instid1(VALU_DEP_1)
	v_cmp_eq_u32_e32 vcc_lo, 0, v23
	s_or_b32 s11, vcc_lo, s11
	s_wait_loadcnt 0x0
	v_and_b32_e32 v24, 0xffff, v22
	v_lshlrev_b64_e32 v[24:25], s0, v[24:25]
	s_add_nc_u64 s[0:1], s[0:1], 8
	s_delay_alu instid0(VALU_DEP_1) | instskip(NEXT) | instid1(VALU_DEP_2)
	v_or_b32_e32 v21, v25, v21
	v_or_b32_e32 v20, v24, v20
	s_and_not1_b32 exec_lo, exec_lo, s11
	s_cbranch_execnz .LBB1_331
; %bb.332:                              ;   in Loop: Header=BB1_280 Depth=1
	s_or_b32 exec_lo, exec_lo, s11
.LBB1_333:                              ;   in Loop: Header=BB1_280 Depth=1
	s_delay_alu instid0(SALU_CYCLE_1)
	s_or_b32 exec_lo, exec_lo, s5
                                        ; implicit-def: $vgpr6_vgpr7
.LBB1_334:                              ;   in Loop: Header=BB1_280 Depth=1
	s_and_not1_saveexec_b32 s0, s4
	s_cbranch_execz .LBB1_336
; %bb.335:                              ;   in Loop: Header=BB1_280 Depth=1
	global_load_b64 v[20:21], v[6:7], off
.LBB1_336:                              ;   in Loop: Header=BB1_280 Depth=1
	s_wait_xcnt 0x0
	s_or_b32 exec_lo, exec_lo, s0
	v_readfirstlane_b32 s0, v48
	v_mov_b64_e32 v[6:7], 0
	s_delay_alu instid0(VALU_DEP_2)
	v_cmp_eq_u32_e64 s0, s0, v48
	s_and_saveexec_b32 s1, s0
	s_cbranch_execz .LBB1_342
; %bb.337:                              ;   in Loop: Header=BB1_280 Depth=1
	global_load_b64 v[24:25], v31, s[2:3] offset:24 scope:SCOPE_SYS
	s_wait_loadcnt 0x0
	global_inv scope:SCOPE_SYS
	s_clause 0x1
	global_load_b64 v[6:7], v31, s[2:3] offset:40
	global_load_b64 v[22:23], v31, s[2:3]
	s_mov_b32 s4, exec_lo
	s_wait_loadcnt 0x1
	v_and_b32_e32 v6, v6, v24
	v_and_b32_e32 v7, v7, v25
	s_delay_alu instid0(VALU_DEP_1) | instskip(SKIP_1) | instid1(VALU_DEP_1)
	v_mul_u64_e32 v[6:7], 24, v[6:7]
	s_wait_loadcnt 0x0
	v_add_nc_u64_e32 v[6:7], v[22:23], v[6:7]
	global_load_b64 v[22:23], v[6:7], off scope:SCOPE_SYS
	s_wait_xcnt 0x0
	s_wait_loadcnt 0x0
	global_atomic_cmpswap_b64 v[6:7], v31, v[22:25], s[2:3] offset:24 th:TH_ATOMIC_RETURN scope:SCOPE_SYS
	s_wait_loadcnt 0x0
	global_inv scope:SCOPE_SYS
	s_wait_xcnt 0x0
	v_cmpx_ne_u64_e64 v[6:7], v[24:25]
	s_cbranch_execz .LBB1_341
; %bb.338:                              ;   in Loop: Header=BB1_280 Depth=1
	s_mov_b32 s5, 0
.LBB1_339:                              ;   Parent Loop BB1_280 Depth=1
                                        ; =>  This Inner Loop Header: Depth=2
	s_sleep 1
	s_clause 0x1
	global_load_b64 v[22:23], v31, s[2:3] offset:40
	global_load_b64 v[34:35], v31, s[2:3]
	v_mov_b64_e32 v[24:25], v[6:7]
	s_wait_loadcnt 0x1
	s_delay_alu instid0(VALU_DEP_1) | instskip(NEXT) | instid1(VALU_DEP_2)
	v_and_b32_e32 v6, v22, v24
	v_and_b32_e32 v22, v23, v25
	s_wait_loadcnt 0x0
	s_delay_alu instid0(VALU_DEP_2) | instskip(NEXT) | instid1(VALU_DEP_1)
	v_mad_nc_u64_u32 v[6:7], v6, 24, v[34:35]
	v_mad_u32 v7, v22, 24, v7
	global_load_b64 v[22:23], v[6:7], off scope:SCOPE_SYS
	s_wait_xcnt 0x0
	s_wait_loadcnt 0x0
	global_atomic_cmpswap_b64 v[6:7], v31, v[22:25], s[2:3] offset:24 th:TH_ATOMIC_RETURN scope:SCOPE_SYS
	s_wait_loadcnt 0x0
	global_inv scope:SCOPE_SYS
	v_cmp_eq_u64_e32 vcc_lo, v[6:7], v[24:25]
	s_or_b32 s5, vcc_lo, s5
	s_wait_xcnt 0x0
	s_and_not1_b32 exec_lo, exec_lo, s5
	s_cbranch_execnz .LBB1_339
; %bb.340:                              ;   in Loop: Header=BB1_280 Depth=1
	s_or_b32 exec_lo, exec_lo, s5
.LBB1_341:                              ;   in Loop: Header=BB1_280 Depth=1
	s_delay_alu instid0(SALU_CYCLE_1)
	s_or_b32 exec_lo, exec_lo, s4
.LBB1_342:                              ;   in Loop: Header=BB1_280 Depth=1
	s_delay_alu instid0(SALU_CYCLE_1)
	s_or_b32 exec_lo, exec_lo, s1
	s_clause 0x1
	global_load_b64 v[34:35], v31, s[2:3] offset:40
	global_load_b128 v[22:25], v31, s[2:3]
	v_readfirstlane_b32 s4, v6
	v_readfirstlane_b32 s5, v7
	s_mov_b32 s1, exec_lo
	s_wait_loadcnt 0x1
	v_and_b32_e32 v36, s4, v34
	v_and_b32_e32 v37, s5, v35
	s_delay_alu instid0(VALU_DEP_1) | instskip(SKIP_1) | instid1(VALU_DEP_1)
	v_mul_u64_e32 v[6:7], 24, v[36:37]
	s_wait_loadcnt 0x0
	v_add_nc_u64_e32 v[34:35], v[22:23], v[6:7]
	s_wait_xcnt 0x0
	s_and_saveexec_b32 s11, s0
	s_cbranch_execz .LBB1_344
; %bb.343:                              ;   in Loop: Header=BB1_280 Depth=1
	v_dual_mov_b32 v6, s1 :: v_dual_mov_b32 v7, v31
	global_store_b128 v[34:35], v[6:9], off offset:8
.LBB1_344:                              ;   in Loop: Header=BB1_280 Depth=1
	s_wait_xcnt 0x0
	s_or_b32 exec_lo, exec_lo, s11
	v_cmp_gt_u64_e32 vcc_lo, 57, v[26:27]
	v_lshlrev_b64_e32 v[6:7], 12, v[36:37]
	v_and_b32_e32 v0, 0xffffff1f, v0
	v_lshl_add_u32 v36, v32, 2, 28
	v_cndmask_b32_e32 v29, 0, v28, vcc_lo
	s_delay_alu instid0(VALU_DEP_4) | instskip(NEXT) | instid1(VALU_DEP_2)
	v_add_nc_u64_e32 v[6:7], v[24:25], v[6:7]
	v_or_b32_e32 v0, v0, v29
	s_delay_alu instid0(VALU_DEP_2) | instskip(NEXT) | instid1(VALU_DEP_3)
	v_readfirstlane_b32 s12, v6
	v_readfirstlane_b32 s13, v7
	s_delay_alu instid0(VALU_DEP_3)
	v_and_or_b32 v0, 0x1e0, v36, v0
	s_clause 0x3
	global_store_b128 v30, v[0:3], s[12:13]
	global_store_b128 v30, v[10:13], s[12:13] offset:16
	global_store_b128 v30, v[14:17], s[12:13] offset:32
	;; [unrolled: 1-line block ×3, first 2 shown]
	s_wait_xcnt 0x0
	s_and_saveexec_b32 s1, s0
	s_cbranch_execz .LBB1_352
; %bb.345:                              ;   in Loop: Header=BB1_280 Depth=1
	s_clause 0x1
	global_load_b64 v[14:15], v31, s[2:3] offset:32 scope:SCOPE_SYS
	global_load_b64 v[0:1], v31, s[2:3] offset:40
	s_mov_b32 s11, exec_lo
	v_dual_mov_b32 v12, s4 :: v_dual_mov_b32 v13, s5
	s_wait_loadcnt 0x0
	v_and_b32_e32 v1, s5, v1
	v_and_b32_e32 v0, s4, v0
	s_delay_alu instid0(VALU_DEP_1) | instskip(NEXT) | instid1(VALU_DEP_1)
	v_mul_u64_e32 v[0:1], 24, v[0:1]
	v_add_nc_u64_e32 v[10:11], v[22:23], v[0:1]
	global_store_b64 v[10:11], v[14:15], off
	global_wb scope:SCOPE_SYS
	s_wait_storecnt 0x0
	s_wait_xcnt 0x0
	global_atomic_cmpswap_b64 v[2:3], v31, v[12:15], s[2:3] offset:32 th:TH_ATOMIC_RETURN scope:SCOPE_SYS
	s_wait_loadcnt 0x0
	v_cmpx_ne_u64_e64 v[2:3], v[14:15]
	s_cbranch_execz .LBB1_348
; %bb.346:                              ;   in Loop: Header=BB1_280 Depth=1
	s_mov_b32 s12, 0
.LBB1_347:                              ;   Parent Loop BB1_280 Depth=1
                                        ; =>  This Inner Loop Header: Depth=2
	v_dual_mov_b32 v0, s4 :: v_dual_mov_b32 v1, s5
	s_sleep 1
	global_store_b64 v[10:11], v[2:3], off
	global_wb scope:SCOPE_SYS
	s_wait_storecnt 0x0
	s_wait_xcnt 0x0
	global_atomic_cmpswap_b64 v[0:1], v31, v[0:3], s[2:3] offset:32 th:TH_ATOMIC_RETURN scope:SCOPE_SYS
	s_wait_loadcnt 0x0
	v_cmp_eq_u64_e32 vcc_lo, v[0:1], v[2:3]
	v_mov_b64_e32 v[2:3], v[0:1]
	s_or_b32 s12, vcc_lo, s12
	s_delay_alu instid0(SALU_CYCLE_1)
	s_and_not1_b32 exec_lo, exec_lo, s12
	s_cbranch_execnz .LBB1_347
.LBB1_348:                              ;   in Loop: Header=BB1_280 Depth=1
	s_or_b32 exec_lo, exec_lo, s11
	global_load_b64 v[0:1], v31, s[2:3] offset:16
	s_mov_b32 s12, exec_lo
	s_mov_b32 s11, exec_lo
	v_mbcnt_lo_u32_b32 v2, s12, 0
	s_wait_xcnt 0x0
	s_delay_alu instid0(VALU_DEP_1)
	v_cmpx_eq_u32_e32 0, v2
	s_cbranch_execz .LBB1_350
; %bb.349:                              ;   in Loop: Header=BB1_280 Depth=1
	s_bcnt1_i32_b32 s12, s12
	s_delay_alu instid0(SALU_CYCLE_1)
	v_dual_mov_b32 v3, v31 :: v_dual_mov_b32 v2, s12
	global_wb scope:SCOPE_SYS
	s_wait_loadcnt 0x0
	s_wait_storecnt 0x0
	global_atomic_add_u64 v[0:1], v[2:3], off offset:8 scope:SCOPE_SYS
.LBB1_350:                              ;   in Loop: Header=BB1_280 Depth=1
	s_wait_xcnt 0x0
	s_or_b32 exec_lo, exec_lo, s11
	s_wait_loadcnt 0x0
	global_load_b64 v[2:3], v[0:1], off offset:16
	s_wait_loadcnt 0x0
	v_cmp_eq_u64_e32 vcc_lo, 0, v[2:3]
	s_cbranch_vccnz .LBB1_352
; %bb.351:                              ;   in Loop: Header=BB1_280 Depth=1
	global_load_b32 v0, v[0:1], off offset:24
	s_wait_xcnt 0x0
	v_mov_b32_e32 v1, v31
	s_wait_loadcnt 0x0
	v_readfirstlane_b32 s11, v0
	global_wb scope:SCOPE_SYS
	s_wait_storecnt 0x0
	global_store_b64 v[2:3], v[0:1], off scope:SCOPE_SYS
	s_and_b32 m0, s11, 0xffffff
	s_sendmsg sendmsg(MSG_INTERRUPT)
.LBB1_352:                              ;   in Loop: Header=BB1_280 Depth=1
	s_wait_xcnt 0x0
	s_or_b32 exec_lo, exec_lo, s1
	v_add_nc_u64_e32 v[0:1], v[6:7], v[30:31]
	s_branch .LBB1_356
.LBB1_353:                              ;   in Loop: Header=BB1_356 Depth=2
	s_wait_xcnt 0x0
	s_or_b32 exec_lo, exec_lo, s1
	s_delay_alu instid0(VALU_DEP_1)
	v_readfirstlane_b32 s1, v2
	s_cmp_eq_u32 s1, 0
	s_cbranch_scc1 .LBB1_355
; %bb.354:                              ;   in Loop: Header=BB1_356 Depth=2
	s_sleep 1
	s_cbranch_execnz .LBB1_356
	s_branch .LBB1_358
.LBB1_355:                              ;   in Loop: Header=BB1_280 Depth=1
	s_branch .LBB1_358
.LBB1_356:                              ;   Parent Loop BB1_280 Depth=1
                                        ; =>  This Inner Loop Header: Depth=2
	v_mov_b32_e32 v2, 1
	s_and_saveexec_b32 s1, s0
	s_cbranch_execz .LBB1_353
; %bb.357:                              ;   in Loop: Header=BB1_356 Depth=2
	global_load_b32 v2, v[34:35], off offset:20 scope:SCOPE_SYS
	s_wait_loadcnt 0x0
	global_inv scope:SCOPE_SYS
	v_and_b32_e32 v2, 1, v2
	s_branch .LBB1_353
.LBB1_358:                              ;   in Loop: Header=BB1_280 Depth=1
	global_load_b64 v[0:1], v[0:1], off
	s_wait_xcnt 0x0
	s_and_saveexec_b32 s11, s0
	s_cbranch_execz .LBB1_279
; %bb.359:                              ;   in Loop: Header=BB1_280 Depth=1
	s_clause 0x2
	global_load_b64 v[2:3], v31, s[2:3] offset:40
	global_load_b64 v[14:15], v31, s[2:3] offset:24 scope:SCOPE_SYS
	global_load_b64 v[6:7], v31, s[2:3]
	s_wait_loadcnt 0x2
	v_readfirstlane_b32 s12, v2
	v_readfirstlane_b32 s13, v3
	s_add_nc_u64 s[0:1], s[12:13], 1
	s_delay_alu instid0(SALU_CYCLE_1) | instskip(NEXT) | instid1(SALU_CYCLE_1)
	s_add_nc_u64 s[4:5], s[0:1], s[4:5]
	s_cmp_eq_u64 s[4:5], 0
	s_cselect_b32 s1, s1, s5
	s_cselect_b32 s0, s0, s4
	s_delay_alu instid0(SALU_CYCLE_1) | instskip(SKIP_1) | instid1(SALU_CYCLE_1)
	v_dual_mov_b32 v13, s1 :: v_dual_mov_b32 v12, s0
	s_and_b64 s[4:5], s[0:1], s[12:13]
	s_mul_u64 s[4:5], s[4:5], 24
	s_wait_loadcnt 0x0
	v_add_nc_u64_e32 v[2:3], s[4:5], v[6:7]
	global_store_b64 v[2:3], v[14:15], off
	global_wb scope:SCOPE_SYS
	s_wait_storecnt 0x0
	s_wait_xcnt 0x0
	global_atomic_cmpswap_b64 v[12:13], v31, v[12:15], s[2:3] offset:24 th:TH_ATOMIC_RETURN scope:SCOPE_SYS
	s_wait_loadcnt 0x0
	v_cmp_ne_u64_e32 vcc_lo, v[12:13], v[14:15]
	s_and_b32 exec_lo, exec_lo, vcc_lo
	s_cbranch_execz .LBB1_279
; %bb.360:                              ;   in Loop: Header=BB1_280 Depth=1
	s_mov_b32 s4, 0
.LBB1_361:                              ;   Parent Loop BB1_280 Depth=1
                                        ; =>  This Inner Loop Header: Depth=2
	v_dual_mov_b32 v10, s0 :: v_dual_mov_b32 v11, s1
	s_sleep 1
	global_store_b64 v[2:3], v[12:13], off
	global_wb scope:SCOPE_SYS
	s_wait_storecnt 0x0
	s_wait_xcnt 0x0
	global_atomic_cmpswap_b64 v[6:7], v31, v[10:13], s[2:3] offset:24 th:TH_ATOMIC_RETURN scope:SCOPE_SYS
	s_wait_loadcnt 0x0
	v_cmp_eq_u64_e32 vcc_lo, v[6:7], v[12:13]
	v_mov_b64_e32 v[12:13], v[6:7]
	s_or_b32 s4, vcc_lo, s4
	s_delay_alu instid0(SALU_CYCLE_1)
	s_and_not1_b32 exec_lo, exec_lo, s4
	s_cbranch_execnz .LBB1_361
	s_branch .LBB1_279
.LBB1_362:
	s_or_b32 exec_lo, exec_lo, s7
                                        ; implicit-def: $vgpr30
                                        ; implicit-def: $vgpr48
.LBB1_363:
	s_and_not1_saveexec_b32 s6, s6
	s_cbranch_execz .LBB1_391
; %bb.364:
	v_readfirstlane_b32 s0, v48
	v_mov_b64_e32 v[2:3], 0
	s_delay_alu instid0(VALU_DEP_2)
	v_cmp_eq_u32_e64 s0, s0, v48
	s_and_saveexec_b32 s1, s0
	s_cbranch_execz .LBB1_370
; %bb.365:
	v_mov_b32_e32 v4, 0
	s_mov_b32 s4, exec_lo
	global_load_b64 v[8:9], v4, s[2:3] offset:24 scope:SCOPE_SYS
	s_wait_loadcnt 0x0
	global_inv scope:SCOPE_SYS
	s_clause 0x1
	global_load_b64 v[2:3], v4, s[2:3] offset:40
	global_load_b64 v[6:7], v4, s[2:3]
	s_wait_loadcnt 0x1
	v_and_b32_e32 v2, v2, v8
	v_and_b32_e32 v3, v3, v9
	s_delay_alu instid0(VALU_DEP_1) | instskip(SKIP_1) | instid1(VALU_DEP_1)
	v_mul_u64_e32 v[2:3], 24, v[2:3]
	s_wait_loadcnt 0x0
	v_add_nc_u64_e32 v[2:3], v[6:7], v[2:3]
	global_load_b64 v[6:7], v[2:3], off scope:SCOPE_SYS
	s_wait_xcnt 0x0
	s_wait_loadcnt 0x0
	global_atomic_cmpswap_b64 v[2:3], v4, v[6:9], s[2:3] offset:24 th:TH_ATOMIC_RETURN scope:SCOPE_SYS
	s_wait_loadcnt 0x0
	global_inv scope:SCOPE_SYS
	s_wait_xcnt 0x0
	v_cmpx_ne_u64_e64 v[2:3], v[8:9]
	s_cbranch_execz .LBB1_369
; %bb.366:
	s_mov_b32 s5, 0
.LBB1_367:                              ; =>This Inner Loop Header: Depth=1
	s_sleep 1
	s_clause 0x1
	global_load_b64 v[6:7], v4, s[2:3] offset:40
	global_load_b64 v[10:11], v4, s[2:3]
	v_mov_b64_e32 v[8:9], v[2:3]
	s_wait_loadcnt 0x1
	s_delay_alu instid0(VALU_DEP_1) | instskip(NEXT) | instid1(VALU_DEP_2)
	v_and_b32_e32 v2, v6, v8
	v_and_b32_e32 v5, v7, v9
	s_wait_loadcnt 0x0
	s_delay_alu instid0(VALU_DEP_2) | instskip(NEXT) | instid1(VALU_DEP_1)
	v_mad_nc_u64_u32 v[2:3], v2, 24, v[10:11]
	v_mad_u32 v3, v5, 24, v3
	global_load_b64 v[6:7], v[2:3], off scope:SCOPE_SYS
	s_wait_xcnt 0x0
	s_wait_loadcnt 0x0
	global_atomic_cmpswap_b64 v[2:3], v4, v[6:9], s[2:3] offset:24 th:TH_ATOMIC_RETURN scope:SCOPE_SYS
	s_wait_loadcnt 0x0
	global_inv scope:SCOPE_SYS
	v_cmp_eq_u64_e32 vcc_lo, v[2:3], v[8:9]
	s_or_b32 s5, vcc_lo, s5
	s_wait_xcnt 0x0
	s_and_not1_b32 exec_lo, exec_lo, s5
	s_cbranch_execnz .LBB1_367
; %bb.368:
	s_or_b32 exec_lo, exec_lo, s5
.LBB1_369:
	s_delay_alu instid0(SALU_CYCLE_1)
	s_or_b32 exec_lo, exec_lo, s4
.LBB1_370:
	s_delay_alu instid0(SALU_CYCLE_1)
	s_or_b32 exec_lo, exec_lo, s1
	v_readfirstlane_b32 s4, v2
	v_mov_b32_e32 v31, 0
	v_readfirstlane_b32 s5, v3
	s_mov_b32 s1, exec_lo
	s_clause 0x1
	global_load_b64 v[8:9], v31, s[2:3] offset:40
	global_load_b128 v[4:7], v31, s[2:3]
	s_wait_loadcnt 0x1
	v_and_b32_e32 v2, s4, v8
	v_and_b32_e32 v3, s5, v9
	s_delay_alu instid0(VALU_DEP_1) | instskip(SKIP_1) | instid1(VALU_DEP_1)
	v_mul_u64_e32 v[8:9], 24, v[2:3]
	s_wait_loadcnt 0x0
	v_add_nc_u64_e32 v[8:9], v[4:5], v[8:9]
	s_wait_xcnt 0x0
	s_and_saveexec_b32 s7, s0
	s_cbranch_execz .LBB1_372
; %bb.371:
	v_mov_b64_e32 v[12:13], 0x100000002
	v_dual_mov_b32 v10, s1 :: v_dual_mov_b32 v11, v31
	global_store_b128 v[8:9], v[10:13], off offset:8
.LBB1_372:
	s_wait_xcnt 0x0
	s_or_b32 exec_lo, exec_lo, s7
	v_lshlrev_b64_e32 v[2:3], 12, v[2:3]
	s_mov_b32 s12, 0
	v_and_or_b32 v0, 0xffffff1f, v0, 32
	s_mov_b32 s13, s12
	s_mov_b32 s14, s12
	;; [unrolled: 1-line block ×3, first 2 shown]
	v_mov_b64_e32 v[10:11], s[12:13]
	v_add_nc_u64_e32 v[6:7], v[6:7], v[2:3]
	v_mov_b64_e32 v[12:13], s[14:15]
	v_dual_mov_b32 v2, v31 :: v_dual_mov_b32 v3, v31
	s_delay_alu instid0(VALU_DEP_3) | instskip(NEXT) | instid1(VALU_DEP_4)
	v_readfirstlane_b32 s10, v6
	v_readfirstlane_b32 s11, v7
	s_clause 0x3
	global_store_b128 v30, v[0:3], s[10:11]
	global_store_b128 v30, v[10:13], s[10:11] offset:16
	global_store_b128 v30, v[10:13], s[10:11] offset:32
	global_store_b128 v30, v[10:13], s[10:11] offset:48
	s_wait_xcnt 0x0
	s_and_saveexec_b32 s1, s0
	s_cbranch_execz .LBB1_380
; %bb.373:
	v_dual_mov_b32 v10, 0 :: v_dual_mov_b32 v13, s5
	s_mov_b32 s7, exec_lo
	s_clause 0x1
	global_load_b64 v[14:15], v10, s[2:3] offset:32 scope:SCOPE_SYS
	global_load_b64 v[0:1], v10, s[2:3] offset:40
	s_wait_loadcnt 0x0
	v_dual_mov_b32 v12, s4 :: v_dual_bitop2_b32 v1, s5, v1 bitop3:0x40
	v_and_b32_e32 v0, s4, v0
	s_delay_alu instid0(VALU_DEP_1) | instskip(NEXT) | instid1(VALU_DEP_1)
	v_mul_u64_e32 v[0:1], 24, v[0:1]
	v_add_nc_u64_e32 v[4:5], v[4:5], v[0:1]
	global_store_b64 v[4:5], v[14:15], off
	global_wb scope:SCOPE_SYS
	s_wait_storecnt 0x0
	s_wait_xcnt 0x0
	global_atomic_cmpswap_b64 v[2:3], v10, v[12:15], s[2:3] offset:32 th:TH_ATOMIC_RETURN scope:SCOPE_SYS
	s_wait_loadcnt 0x0
	v_cmpx_ne_u64_e64 v[2:3], v[14:15]
	s_cbranch_execz .LBB1_376
; %bb.374:
	s_mov_b32 s10, 0
.LBB1_375:                              ; =>This Inner Loop Header: Depth=1
	v_dual_mov_b32 v0, s4 :: v_dual_mov_b32 v1, s5
	s_sleep 1
	global_store_b64 v[4:5], v[2:3], off
	global_wb scope:SCOPE_SYS
	s_wait_storecnt 0x0
	s_wait_xcnt 0x0
	global_atomic_cmpswap_b64 v[0:1], v10, v[0:3], s[2:3] offset:32 th:TH_ATOMIC_RETURN scope:SCOPE_SYS
	s_wait_loadcnt 0x0
	v_cmp_eq_u64_e32 vcc_lo, v[0:1], v[2:3]
	v_mov_b64_e32 v[2:3], v[0:1]
	s_or_b32 s10, vcc_lo, s10
	s_delay_alu instid0(SALU_CYCLE_1)
	s_and_not1_b32 exec_lo, exec_lo, s10
	s_cbranch_execnz .LBB1_375
.LBB1_376:
	s_or_b32 exec_lo, exec_lo, s7
	v_mov_b32_e32 v3, 0
	s_mov_b32 s10, exec_lo
	s_mov_b32 s7, exec_lo
	v_mbcnt_lo_u32_b32 v2, s10, 0
	global_load_b64 v[0:1], v3, s[2:3] offset:16
	s_wait_xcnt 0x0
	v_cmpx_eq_u32_e32 0, v2
	s_cbranch_execz .LBB1_378
; %bb.377:
	s_bcnt1_i32_b32 s10, s10
	s_delay_alu instid0(SALU_CYCLE_1)
	v_mov_b32_e32 v2, s10
	global_wb scope:SCOPE_SYS
	s_wait_loadcnt 0x0
	s_wait_storecnt 0x0
	global_atomic_add_u64 v[0:1], v[2:3], off offset:8 scope:SCOPE_SYS
.LBB1_378:
	s_wait_xcnt 0x0
	s_or_b32 exec_lo, exec_lo, s7
	s_wait_loadcnt 0x0
	global_load_b64 v[2:3], v[0:1], off offset:16
	s_wait_loadcnt 0x0
	v_cmp_eq_u64_e32 vcc_lo, 0, v[2:3]
	s_cbranch_vccnz .LBB1_380
; %bb.379:
	global_load_b32 v0, v[0:1], off offset:24
	s_wait_xcnt 0x0
	v_mov_b32_e32 v1, 0
	s_wait_loadcnt 0x0
	v_readfirstlane_b32 s7, v0
	global_wb scope:SCOPE_SYS
	s_wait_storecnt 0x0
	global_store_b64 v[2:3], v[0:1], off scope:SCOPE_SYS
	s_and_b32 m0, s7, 0xffffff
	s_sendmsg sendmsg(MSG_INTERRUPT)
.LBB1_380:
	s_wait_xcnt 0x0
	s_or_b32 exec_lo, exec_lo, s1
	v_add_nc_u64_e32 v[0:1], v[6:7], v[30:31]
	s_branch .LBB1_384
.LBB1_381:                              ;   in Loop: Header=BB1_384 Depth=1
	s_wait_xcnt 0x0
	s_or_b32 exec_lo, exec_lo, s1
	s_delay_alu instid0(VALU_DEP_1)
	v_readfirstlane_b32 s1, v2
	s_cmp_eq_u32 s1, 0
	s_cbranch_scc1 .LBB1_383
; %bb.382:                              ;   in Loop: Header=BB1_384 Depth=1
	s_sleep 1
	s_cbranch_execnz .LBB1_384
	s_branch .LBB1_386
.LBB1_383:
	s_branch .LBB1_386
.LBB1_384:                              ; =>This Inner Loop Header: Depth=1
	v_mov_b32_e32 v2, 1
	s_and_saveexec_b32 s1, s0
	s_cbranch_execz .LBB1_381
; %bb.385:                              ;   in Loop: Header=BB1_384 Depth=1
	global_load_b32 v2, v[8:9], off offset:20 scope:SCOPE_SYS
	s_wait_loadcnt 0x0
	global_inv scope:SCOPE_SYS
	v_and_b32_e32 v2, 1, v2
	s_branch .LBB1_381
.LBB1_386:
	global_load_b64 v[0:1], v[0:1], off
	s_wait_xcnt 0x0
	s_and_saveexec_b32 s7, s0
	s_cbranch_execz .LBB1_390
; %bb.387:
	v_mov_b32_e32 v8, 0
	s_clause 0x2
	global_load_b64 v[2:3], v8, s[2:3] offset:40
	global_load_b64 v[12:13], v8, s[2:3] offset:24 scope:SCOPE_SYS
	global_load_b64 v[4:5], v8, s[2:3]
	s_wait_loadcnt 0x2
	v_readfirstlane_b32 s10, v2
	v_readfirstlane_b32 s11, v3
	s_add_nc_u64 s[0:1], s[10:11], 1
	s_delay_alu instid0(SALU_CYCLE_1) | instskip(NEXT) | instid1(SALU_CYCLE_1)
	s_add_nc_u64 s[4:5], s[0:1], s[4:5]
	s_cmp_eq_u64 s[4:5], 0
	s_cselect_b32 s1, s1, s5
	s_cselect_b32 s0, s0, s4
	v_mov_b32_e32 v11, s1
	s_and_b64 s[4:5], s[0:1], s[10:11]
	v_mov_b32_e32 v10, s0
	s_mul_u64 s[4:5], s[4:5], 24
	s_wait_loadcnt 0x0
	v_add_nc_u64_e32 v[6:7], s[4:5], v[4:5]
	global_store_b64 v[6:7], v[12:13], off
	global_wb scope:SCOPE_SYS
	s_wait_storecnt 0x0
	s_wait_xcnt 0x0
	global_atomic_cmpswap_b64 v[4:5], v8, v[10:13], s[2:3] offset:24 th:TH_ATOMIC_RETURN scope:SCOPE_SYS
	s_wait_loadcnt 0x0
	v_cmp_ne_u64_e32 vcc_lo, v[4:5], v[12:13]
	s_and_b32 exec_lo, exec_lo, vcc_lo
	s_cbranch_execz .LBB1_390
; %bb.388:
	s_mov_b32 s4, 0
.LBB1_389:                              ; =>This Inner Loop Header: Depth=1
	v_dual_mov_b32 v2, s0 :: v_dual_mov_b32 v3, s1
	s_sleep 1
	global_store_b64 v[6:7], v[4:5], off
	global_wb scope:SCOPE_SYS
	s_wait_storecnt 0x0
	s_wait_xcnt 0x0
	global_atomic_cmpswap_b64 v[2:3], v8, v[2:5], s[2:3] offset:24 th:TH_ATOMIC_RETURN scope:SCOPE_SYS
	s_wait_loadcnt 0x0
	v_cmp_eq_u64_e32 vcc_lo, v[2:3], v[4:5]
	v_mov_b64_e32 v[4:5], v[2:3]
	s_or_b32 s4, vcc_lo, s4
	s_delay_alu instid0(SALU_CYCLE_1)
	s_and_not1_b32 exec_lo, exec_lo, s4
	s_cbranch_execnz .LBB1_389
.LBB1_390:
	s_or_b32 exec_lo, exec_lo, s7
.LBB1_391:
	s_delay_alu instid0(SALU_CYCLE_1)
	s_or_b32 exec_lo, exec_lo, s6
	s_get_pc_i64 s[0:1]
	s_add_nc_u64 s[0:1], s[0:1], .str.3@rel64+4
	s_get_pc_i64 s[2:3]
	s_add_nc_u64 s[2:3], s[2:3], .str.3@rel64+32
	v_dual_mov_b32 v2, s0 :: v_dual_mov_b32 v3, s1
	s_sub_co_i32 s4, s2, s0
	v_mov_b32_e32 v6, 1
	s_ashr_i32 s5, s4, 31
	s_delay_alu instid0(SALU_CYCLE_1) | instskip(SKIP_2) | instid1(SALU_CYCLE_1)
	v_dual_mov_b32 v4, s4 :: v_dual_mov_b32 v5, s5
	s_get_pc_i64 s[2:3]
	s_add_nc_u64 s[2:3], s[2:3], __ockl_fprintf_append_string_n@rel64+4
	s_swap_pc_i64 s[30:31], s[2:3]
	s_trap 2
.Lfunc_end1:
	.size	__assert_fail, .Lfunc_end1-__assert_fail
                                        ; -- End function
	.set .L__assert_fail.num_vgpr, max(49, .L__ockl_fprintf_append_string_n.num_vgpr)
	.set .L__assert_fail.num_agpr, max(0, .L__ockl_fprintf_append_string_n.num_agpr)
	.set .L__assert_fail.numbered_sgpr, max(34, .L__ockl_fprintf_append_string_n.numbered_sgpr)
	.set .L__assert_fail.num_named_barrier, max(0, .L__ockl_fprintf_append_string_n.num_named_barrier)
	.set .L__assert_fail.private_seg_size, 64+max(.L__ockl_fprintf_append_string_n.private_seg_size)
	.set .L__assert_fail.uses_vcc, or(1, .L__ockl_fprintf_append_string_n.uses_vcc)
	.set .L__assert_fail.uses_flat_scratch, or(1, .L__ockl_fprintf_append_string_n.uses_flat_scratch)
	.set .L__assert_fail.has_dyn_sized_stack, or(0, .L__ockl_fprintf_append_string_n.has_dyn_sized_stack)
	.set .L__assert_fail.has_recursion, or(0, .L__ockl_fprintf_append_string_n.has_recursion)
	.set .L__assert_fail.has_indirect_call, or(0, .L__ockl_fprintf_append_string_n.has_indirect_call)
	.section	.AMDGPU.csdata,"",@progbits
; Function info:
; codeLenInByte = 15740
; TotalNumSgprs: 36
; NumVgprs: 49
; ScratchSize: 64
; MemoryBound: 0
	.text
	.p2align	2                               ; -- Begin function _ZN12_GLOBAL__N_17runRingIa7FuncSumIaE11ProtoSimpleILi2ELi2ELi0ELi1ELi0ELi0EELi0ELi1ELi0EEEviiP15ncclDevWorkColl
	.type	_ZN12_GLOBAL__N_17runRingIa7FuncSumIaE11ProtoSimpleILi2ELi2ELi0ELi1ELi0ELi0EELi0ELi1ELi0EEEviiP15ncclDevWorkColl,@function
_ZN12_GLOBAL__N_17runRingIa7FuncSumIaE11ProtoSimpleILi2ELi2ELi0ELi1ELi0ELi0EELi0ELi1ELi0EEEviiP15ncclDevWorkColl: ; @_ZN12_GLOBAL__N_17runRingIa7FuncSumIaE11ProtoSimpleILi2ELi2ELi0ELi1ELi0ELi0EELi0ELi1ELi0EEEviiP15ncclDevWorkColl
; %bb.0:
	s_wait_loadcnt_dscnt 0x0
	s_wait_kmcnt 0x0
	s_mov_b32 s63, s33
	s_mov_b32 s33, s32
	s_or_saveexec_b32 s0, -1
	scratch_store_b32 off, v79, s33 offset:92 ; 4-byte Folded Spill
	s_wait_xcnt 0x0
	s_mov_b32 exec_lo, s0
	s_addk_co_i32 s32, 0x70
	s_clause 0x16
	scratch_store_b32 off, v40, s33 offset:88
	; meta instruction
	scratch_store_b32 off, v41, s33 offset:84
	; meta instruction
	;; [unrolled: 2-line block ×22, first 2 shown]
	scratch_store_b32 off, v78, s33
	v_writelane_b32 v79, s30, 0
	v_writelane_b32 v79, s31, 1
	s_trap 2
	s_clause 0x2
	flat_load_b32 v10, v[2:3]
	flat_load_b128 v[4:7], v[2:3] offset:72
	flat_load_b64 v[8:9], v[2:3] offset:88
	ds_load_b32 v15, v0
	s_mov_b32 s0, exec_lo
                                        ; implicit-def: $vgpr32_vgpr33
	s_wait_dscnt 0x0
	v_readfirstlane_b32 s16, v15
	s_wait_loadcnt 0x2
	v_and_b32_e32 v17, 0xff, v10
	v_bfe_u32 v18, v10, 8, 8
	s_wait_xcnt 0x0
	s_delay_alu instid0(VALU_DEP_2)
	v_cmpx_ne_u32_e64 v15, v17
	s_xor_b32 s0, exec_lo, s0
	s_cbranch_execz .LBB2_6
; %bb.1:
	flat_load_b64 v[10:11], v[2:3] offset:96
	s_mov_b32 s1, exec_lo
                                        ; implicit-def: $vgpr32_vgpr33
	s_wait_xcnt 0x0
	v_cmpx_ne_u32_e64 v15, v18
	s_xor_b32 s1, exec_lo, s1
	s_cbranch_execz .LBB2_3
; %bb.2:
	s_wait_loadcnt_dscnt 0x0
	v_lshrrev_b64 v[32:33], 12, v[10:11]
                                        ; implicit-def: $vgpr10_vgpr11
.LBB2_3:
	s_and_not1_saveexec_b32 s1, s1
	s_cbranch_execz .LBB2_5
; %bb.4:
	s_wait_loadcnt_dscnt 0x0
	v_lshrrev_b32_e32 v32, 1, v11
.LBB2_5:
	s_or_b32 exec_lo, exec_lo, s1
.LBB2_6:
	s_and_not1_saveexec_b32 s0, s0
	s_cbranch_execz .LBB2_8
; %bb.7:
	s_wait_loadcnt_dscnt 0x0
	flat_load_b64 v[10:11], v[2:3] offset:96
	s_wait_loadcnt_dscnt 0x0
	v_lshlrev_b64_e32 v[32:33], 9, v[10:11]
.LBB2_8:
	s_wait_xcnt 0x0
	s_or_b32 exec_lo, exec_lo, s0
	s_wait_loadcnt_dscnt 0x0
	flat_load_u16 v10, v[2:3] offset:8
	v_xad_u32 v11, v17, -1, v18
                                        ; implicit-def: $vgpr34_vgpr35
	v_dual_mov_b32 v29, 0 :: v_dual_sub_nc_u32 v15, v15, v17
	s_delay_alu instid0(VALU_DEP_2) | instskip(NEXT) | instid1(VALU_DEP_1)
	v_mad_nc_u64_u32 v[4:5], v6, v11, v[4:5]
	v_mad_u32 v5, v7, v11, v5
	v_ashrrev_i32_e32 v7, 31, v11
	s_delay_alu instid0(VALU_DEP_1) | instskip(NEXT) | instid1(VALU_DEP_1)
	v_mad_u32 v5, v6, v7, v5
	v_add_nc_u64_e32 v[12:13], v[4:5], v[8:9]
	s_delay_alu instid0(VALU_DEP_1) | instskip(NEXT) | instid1(VALU_DEP_1)
	v_sub_nc_u64_e32 v[4:5], 0, v[12:13]
	v_and_b32_e32 v5, v13, v5
	s_delay_alu instid0(VALU_DEP_2) | instskip(NEXT) | instid1(VALU_DEP_2)
	v_and_b32_e32 v4, v12, v4
	v_cvt_f64_u32_e32 v[6:7], v5
	s_delay_alu instid0(VALU_DEP_1) | instskip(SKIP_3) | instid1(VALU_DEP_2)
	v_ldexp_f64 v[6:7], v[6:7], 32
	s_wait_loadcnt_dscnt 0x0
	v_lshrrev_b32_e32 v21, 1, v10
	v_cvt_f64_u32_e32 v[4:5], v4
	v_lshlrev_b32_e32 v14, 1, v21
	s_delay_alu instid0(VALU_DEP_1) | instskip(NEXT) | instid1(VALU_DEP_1)
	v_dual_add_f64 v[4:5], v[6:7], v[4:5] :: v_dual_sub_nc_u32 v6, 0, v14
	v_dual_mov_b32 v6, v29 :: v_dual_max_i32 v16, v14, v6
	s_delay_alu instid0(VALU_DEP_2) | instskip(NEXT) | instid1(VALU_DEP_1)
	v_min_num_f64_e32 v[4:5], 0x40700000, v[4:5]
	v_cvt_i32_f64_e32 v66, v[4:5]
	s_delay_alu instid0(VALU_DEP_3) | instskip(SKIP_1) | instid1(VALU_DEP_2)
	v_cvt_f32_u32_e32 v4, v16
	v_sub_nc_u32_e32 v5, 0, v16
	v_rcp_iflag_f32_e32 v4, v4
	v_nop
	s_delay_alu instid0(TRANS32_DEP_1) | instskip(NEXT) | instid1(VALU_DEP_1)
	v_dual_mul_f32 v4, 0x4f7ffffe, v4 :: v_dual_ashrrev_i32 v67, 31, v66
	v_cvt_u32_f32_e32 v4, v4
	s_delay_alu instid0(VALU_DEP_2) | instskip(NEXT) | instid1(VALU_DEP_2)
	v_or_b32_e32 v7, v13, v67
	v_mul_lo_u32 v5, v5, v4
	s_delay_alu instid0(VALU_DEP_2) | instskip(SKIP_1) | instid1(VALU_DEP_3)
	v_cmp_ne_u64_e32 vcc_lo, 0, v[6:7]
	v_sub_nc_u32_e32 v6, 0, v15
	v_mul_hi_u32 v5, v4, v5
	s_wait_xcnt 0x0
	s_and_saveexec_b32 s0, vcc_lo
	s_delay_alu instid0(SALU_CYCLE_1)
	s_xor_b32 s1, exec_lo, s0
	s_cbranch_execz .LBB2_10
; %bb.9:
	v_cvt_f32_u32_e32 v7, v66
	v_cvt_f32_u32_e32 v8, v67
	v_dual_mov_b32 v27, v29 :: v_dual_mov_b32 v25, v29
	s_delay_alu instid0(VALU_DEP_2) | instskip(NEXT) | instid1(VALU_DEP_1)
	v_fmamk_f32 v7, v8, 0x4f800000, v7
	v_rcp_f32_e32 v7, v7
	v_nop
	s_delay_alu instid0(TRANS32_DEP_1) | instskip(NEXT) | instid1(VALU_DEP_1)
	v_mul_f32_e32 v7, 0x5f7ffffc, v7
	v_mul_f32_e32 v8, 0x2f800000, v7
	s_delay_alu instid0(VALU_DEP_1) | instskip(SKIP_1) | instid1(VALU_DEP_2)
	v_trunc_f32_e32 v10, v8
	v_sub_nc_u64_e32 v[8:9], 0, v[66:67]
	v_cvt_u32_f32_e32 v11, v10
	s_delay_alu instid0(VALU_DEP_1) | instskip(NEXT) | instid1(VALU_DEP_1)
	v_dual_fmamk_f32 v7, v10, 0xcf800000, v7 :: v_dual_mov_b32 v26, v11
	v_cvt_u32_f32_e32 v28, v7
	s_delay_alu instid0(VALU_DEP_1) | instskip(NEXT) | instid1(VALU_DEP_1)
	v_mov_b32_e32 v10, v28
	v_mul_u64_e32 v[22:23], v[8:9], v[10:11]
	s_delay_alu instid0(VALU_DEP_1) | instskip(NEXT) | instid1(VALU_DEP_1)
	v_dual_mov_b32 v24, v23 :: v_dual_mov_b32 v23, v29
	v_mul_u64_e32 v[34:35], v[28:29], v[24:25]
	s_delay_alu instid0(VALU_DEP_2) | instskip(SKIP_2) | instid1(VALU_DEP_1)
	v_mul_u64_e32 v[36:37], v[26:27], v[22:23]
	v_mul_u64_e32 v[24:25], v[26:27], v[24:25]
	v_mul_hi_u32 v22, v28, v22
	v_add_nc_u64_e32 v[22:23], v[22:23], v[34:35]
	s_delay_alu instid0(VALU_DEP_1) | instskip(NEXT) | instid1(VALU_DEP_2)
	v_add_co_u32 v7, vcc_lo, v22, v36
	v_add_co_ci_u32_e32 v26, vcc_lo, v23, v37, vcc_lo
	v_add_co_ci_u32_e32 v25, vcc_lo, 0, v25, vcc_lo
	s_delay_alu instid0(VALU_DEP_1) | instskip(NEXT) | instid1(VALU_DEP_1)
	v_add_nc_u64_e32 v[22:23], v[26:27], v[24:25]
	v_add_co_u32 v10, vcc_lo, v28, v22
	s_delay_alu instid0(VALU_DEP_1) | instskip(NEXT) | instid1(VALU_DEP_1)
	v_add_co_ci_u32_e64 v28, null, v11, v23, vcc_lo
	v_dual_mov_b32 v23, v29 :: v_dual_mov_b32 v11, v28
	s_delay_alu instid0(VALU_DEP_1) | instskip(NEXT) | instid1(VALU_DEP_1)
	v_mul_u64_e32 v[8:9], v[8:9], v[10:11]
	v_dual_mov_b32 v11, v29 :: v_dual_mov_b32 v22, v9
	s_delay_alu instid0(VALU_DEP_2) | instskip(SKIP_1) | instid1(VALU_DEP_3)
	v_dual_mov_b32 v26, v8 :: v_dual_mov_b32 v9, v29
	v_mul_hi_u32 v8, v10, v8
	v_mul_u64_e32 v[24:25], v[10:11], v[22:23]
	s_delay_alu instid0(VALU_DEP_3) | instskip(SKIP_1) | instid1(VALU_DEP_3)
	v_mul_u64_e32 v[26:27], v[28:29], v[26:27]
	v_mul_u64_e32 v[22:23], v[28:29], v[22:23]
	v_add_nc_u64_e32 v[8:9], v[8:9], v[24:25]
	v_mov_b32_e32 v25, v29
	s_delay_alu instid0(VALU_DEP_2) | instskip(NEXT) | instid1(VALU_DEP_3)
	v_add_co_u32 v7, vcc_lo, v8, v26
	v_add_co_ci_u32_e32 v24, vcc_lo, v9, v27, vcc_lo
	v_add_co_ci_u32_e32 v23, vcc_lo, 0, v23, vcc_lo
	s_delay_alu instid0(VALU_DEP_1) | instskip(SKIP_1) | instid1(VALU_DEP_2)
	v_add_nc_u64_e32 v[8:9], v[24:25], v[22:23]
	v_dual_mov_b32 v22, v12 :: v_dual_mov_b32 v23, v29
	v_add_co_u32 v8, vcc_lo, v10, v8
	s_delay_alu instid0(VALU_DEP_1) | instskip(SKIP_1) | instid1(VALU_DEP_2)
	v_add_co_ci_u32_e64 v28, null, v28, v9, vcc_lo
	v_dual_mov_b32 v10, v13 :: v_dual_mov_b32 v9, v29
	v_mul_u64_e32 v[22:23], v[22:23], v[28:29]
	s_delay_alu instid0(VALU_DEP_2) | instskip(SKIP_2) | instid1(VALU_DEP_1)
	v_mul_u64_e32 v[24:25], v[10:11], v[8:9]
	v_mul_u64_e32 v[10:11], v[10:11], v[28:29]
	v_mul_hi_u32 v8, v12, v8
	v_add_nc_u64_e32 v[8:9], v[8:9], v[22:23]
	s_delay_alu instid0(VALU_DEP_1) | instskip(NEXT) | instid1(VALU_DEP_2)
	v_add_co_u32 v7, vcc_lo, v8, v24
	v_add_co_ci_u32_e32 v28, vcc_lo, v9, v25, vcc_lo
	v_add_co_ci_u32_e32 v11, vcc_lo, 0, v11, vcc_lo
	s_delay_alu instid0(VALU_DEP_1) | instskip(NEXT) | instid1(VALU_DEP_1)
	v_add_nc_u64_e32 v[8:9], v[28:29], v[10:11]
	v_mul_u64_e32 v[10:11], v[66:67], v[8:9]
	v_add_nc_u64_e32 v[22:23], 2, v[8:9]
	s_delay_alu instid0(VALU_DEP_2) | instskip(NEXT) | instid1(VALU_DEP_3)
	v_sub_nc_u32_e32 v7, v13, v11
	v_sub_co_u32 v10, vcc_lo, v12, v10
	s_delay_alu instid0(VALU_DEP_1) | instskip(NEXT) | instid1(VALU_DEP_3)
	v_sub_co_ci_u32_e64 v24, null, v13, v11, vcc_lo
	v_sub_co_ci_u32_e64 v7, null, v7, v67, vcc_lo
	s_delay_alu instid0(VALU_DEP_3) | instskip(SKIP_1) | instid1(VALU_DEP_3)
	v_sub_co_u32 v19, s0, v10, v66
	v_cmp_ge_u32_e32 vcc_lo, v10, v66
	v_subrev_co_ci_u32_e64 v7, null, 0, v7, s0
	s_delay_alu instid0(VALU_DEP_3) | instskip(SKIP_2) | instid1(VALU_DEP_4)
	v_cmp_ge_u32_e64 s0, v19, v66
	v_add_nc_u64_e32 v[10:11], 1, v[8:9]
	v_cndmask_b32_e64 v25, 0, -1, vcc_lo
	v_cmp_eq_u32_e32 vcc_lo, v7, v67
	s_delay_alu instid0(VALU_DEP_4) | instskip(SKIP_1) | instid1(VALU_DEP_1)
	v_cndmask_b32_e64 v19, 0, -1, s0
	v_cmp_ge_u32_e64 s0, v7, v67
	v_cndmask_b32_e64 v20, 0, -1, s0
	v_cmp_eq_u32_e64 s0, v24, v67
	s_delay_alu instid0(VALU_DEP_2) | instskip(SKIP_2) | instid1(VALU_DEP_3)
	v_cndmask_b32_e32 v7, v20, v19, vcc_lo
	v_cmp_ge_u32_e32 vcc_lo, v24, v67
	v_cndmask_b32_e64 v19, 0, -1, vcc_lo
	v_cmp_ne_u32_e32 vcc_lo, 0, v7
	v_dual_cndmask_b32 v10, v10, v22 :: v_dual_cndmask_b32 v11, v11, v23
	s_delay_alu instid0(VALU_DEP_3) | instskip(NEXT) | instid1(VALU_DEP_1)
	v_cndmask_b32_e64 v7, v19, v25, s0
	v_cmp_ne_u32_e32 vcc_lo, 0, v7
	s_delay_alu instid0(VALU_DEP_3)
	v_dual_cndmask_b32 v34, v8, v10 :: v_dual_cndmask_b32 v35, v9, v11
.LBB2_10:
	s_or_saveexec_b32 s0, s1
	s_delay_alu instid0(VALU_DEP_1)
	v_dual_add_nc_u32 v4, v4, v5 :: v_dual_max_i32 v28, v15, v6
	s_xor_b32 exec_lo, exec_lo, s0
	s_cbranch_execz .LBB2_12
; %bb.11:
	v_cvt_f32_u32_e32 v5, v66
	v_dual_mov_b32 v35, 0 :: v_dual_sub_nc_u32 v6, 0, v66
	s_delay_alu instid0(VALU_DEP_2) | instskip(SKIP_1) | instid1(TRANS32_DEP_1)
	v_rcp_iflag_f32_e32 v5, v5
	v_nop
	v_mul_f32_e32 v5, 0x4f7ffffe, v5
	s_delay_alu instid0(VALU_DEP_1) | instskip(NEXT) | instid1(VALU_DEP_1)
	v_cvt_u32_f32_e32 v5, v5
	v_mul_lo_u32 v6, v6, v5
	s_delay_alu instid0(VALU_DEP_1) | instskip(NEXT) | instid1(VALU_DEP_1)
	v_mul_hi_u32 v6, v5, v6
	v_add_nc_u32_e32 v5, v5, v6
	s_delay_alu instid0(VALU_DEP_1) | instskip(NEXT) | instid1(VALU_DEP_1)
	v_mul_hi_u32 v5, v12, v5
	v_mul_lo_u32 v6, v5, v66
	s_delay_alu instid0(VALU_DEP_1) | instskip(NEXT) | instid1(VALU_DEP_1)
	v_dual_sub_nc_u32 v6, v12, v6 :: v_dual_add_nc_u32 v7, 1, v5
	v_sub_nc_u32_e32 v8, v6, v66
	v_cmp_ge_u32_e32 vcc_lo, v6, v66
	s_delay_alu instid0(VALU_DEP_2) | instskip(NEXT) | instid1(VALU_DEP_1)
	v_dual_cndmask_b32 v6, v6, v8 :: v_dual_cndmask_b32 v5, v5, v7
	v_cmp_ge_u32_e32 vcc_lo, v6, v66
	s_delay_alu instid0(VALU_DEP_2) | instskip(NEXT) | instid1(VALU_DEP_1)
	v_add_nc_u32_e32 v7, 1, v5
	v_cndmask_b32_e32 v34, v5, v7, vcc_lo
.LBB2_12:
	s_or_b32 exec_lo, exec_lo, s0
	v_sub_nc_u32_e32 v5, v18, v17
                                        ; implicit-def: $vgpr50_vgpr51
	s_mov_b32 s0, exec_lo
	v_mov_b32_e32 v10, 0
	s_delay_alu instid0(VALU_DEP_2) | instskip(NEXT) | instid1(VALU_DEP_1)
	v_add_nc_u16 v5, v5, 1
	v_lshrrev_b16 v6, 15, v5
	s_delay_alu instid0(VALU_DEP_1) | instskip(NEXT) | instid1(VALU_DEP_1)
	v_add_nc_u16 v5, v5, v6
	v_ashrrev_i16 v5, 1, v5
	s_delay_alu instid0(VALU_DEP_1) | instskip(NEXT) | instid1(VALU_DEP_1)
	v_bfe_i32 v36, v5, 0, 16
	v_dual_mov_b32 v5, v29 :: v_dual_ashrrev_i32 v37, 31, v36
	s_delay_alu instid0(VALU_DEP_1) | instskip(NEXT) | instid1(VALU_DEP_1)
	v_or_b32_e32 v11, v35, v37
	v_cmpx_ne_u64_e32 0, v[10:11]
	s_xor_b32 s1, exec_lo, s0
	s_cbranch_execz .LBB2_14
; %bb.13:
	v_dual_mov_b32 v19, v10 :: v_dual_ashrrev_i32 v6, 31, v37
	v_dual_mov_b32 v39, v10 :: v_dual_mov_b32 v49, v10
	s_delay_alu instid0(VALU_DEP_2) | instskip(NEXT) | instid1(VALU_DEP_1)
	v_mov_b32_e32 v7, v6
	v_add_nc_u64_e32 v[8:9], v[36:37], v[6:7]
	s_delay_alu instid0(VALU_DEP_1) | instskip(NEXT) | instid1(VALU_DEP_2)
	v_xor_b32_e32 v8, v8, v6
	v_xor_b32_e32 v9, v9, v6
	s_delay_alu instid0(VALU_DEP_2) | instskip(NEXT) | instid1(VALU_DEP_2)
	v_cvt_f32_u32_e32 v7, v8
	v_cvt_f32_u32_e32 v11, v9
	s_delay_alu instid0(VALU_DEP_1) | instskip(NEXT) | instid1(VALU_DEP_1)
	v_fmamk_f32 v7, v11, 0x4f800000, v7
	v_rcp_f32_e32 v7, v7
	v_nop
	s_delay_alu instid0(TRANS32_DEP_1) | instskip(NEXT) | instid1(VALU_DEP_1)
	v_mul_f32_e32 v7, 0x5f7ffffc, v7
	v_mul_f32_e32 v11, 0x2f800000, v7
	s_delay_alu instid0(VALU_DEP_1) | instskip(NEXT) | instid1(VALU_DEP_1)
	v_trunc_f32_e32 v11, v11
	v_fmamk_f32 v7, v11, 0xcf800000, v7
	v_cvt_u32_f32_e32 v25, v11
	v_mov_b32_e32 v11, v10
	s_delay_alu instid0(VALU_DEP_3) | instskip(NEXT) | instid1(VALU_DEP_1)
	v_cvt_u32_f32_e32 v18, v7
	v_dual_mov_b32 v48, v25 :: v_dual_mov_b32 v24, v18
	v_sub_nc_u64_e32 v[22:23], 0, v[8:9]
	s_delay_alu instid0(VALU_DEP_1) | instskip(NEXT) | instid1(VALU_DEP_1)
	v_mul_u64_e32 v[26:27], v[22:23], v[24:25]
	v_dual_mov_b32 v38, v27 :: v_dual_mov_b32 v27, v10
	s_delay_alu instid0(VALU_DEP_1) | instskip(NEXT) | instid1(VALU_DEP_2)
	v_mul_u64_e32 v[50:51], v[18:19], v[38:39]
	v_mul_u64_e32 v[52:53], v[48:49], v[26:27]
	;; [unrolled: 1-line block ×3, first 2 shown]
	v_mul_hi_u32 v26, v18, v26
	s_delay_alu instid0(VALU_DEP_1) | instskip(SKIP_1) | instid1(VALU_DEP_2)
	v_add_nc_u64_e32 v[26:27], v[26:27], v[50:51]
	v_ashrrev_i32_e32 v50, 31, v35
	v_add_co_u32 v7, vcc_lo, v26, v52
	s_delay_alu instid0(VALU_DEP_3) | instskip(SKIP_1) | instid1(VALU_DEP_1)
	v_add_co_ci_u32_e32 v48, vcc_lo, v27, v53, vcc_lo
	v_add_co_ci_u32_e32 v39, vcc_lo, 0, v39, vcc_lo
	v_add_nc_u64_e32 v[26:27], v[48:49], v[38:39]
	s_delay_alu instid0(VALU_DEP_1) | instskip(NEXT) | instid1(VALU_DEP_1)
	v_add_co_u32 v18, vcc_lo, v18, v26
	v_add_co_ci_u32_e64 v24, null, v25, v27, vcc_lo
	v_dual_mov_b32 v27, v10 :: v_dual_mov_b32 v25, v10
	s_delay_alu instid0(VALU_DEP_2) | instskip(NEXT) | instid1(VALU_DEP_1)
	v_mov_b32_e32 v19, v24
	v_mul_u64_e32 v[22:23], v[22:23], v[18:19]
	s_delay_alu instid0(VALU_DEP_1) | instskip(NEXT) | instid1(VALU_DEP_2)
	v_dual_mov_b32 v19, v10 :: v_dual_mov_b32 v26, v23
	v_dual_mov_b32 v48, v22 :: v_dual_mov_b32 v23, v10
	v_mul_hi_u32 v22, v18, v22
	s_delay_alu instid0(VALU_DEP_3) | instskip(NEXT) | instid1(VALU_DEP_3)
	v_mul_u64_e32 v[38:39], v[18:19], v[26:27]
	v_mul_u64_e32 v[48:49], v[24:25], v[48:49]
	;; [unrolled: 1-line block ×3, first 2 shown]
	s_delay_alu instid0(VALU_DEP_3) | instskip(SKIP_1) | instid1(VALU_DEP_2)
	v_add_nc_u64_e32 v[22:23], v[22:23], v[38:39]
	v_dual_mov_b32 v39, v10 :: v_dual_mov_b32 v51, v50
	v_add_co_u32 v7, vcc_lo, v22, v48
	s_delay_alu instid0(VALU_DEP_3) | instskip(SKIP_1) | instid1(VALU_DEP_1)
	v_add_co_ci_u32_e32 v38, vcc_lo, v23, v49, vcc_lo
	v_add_co_ci_u32_e32 v27, vcc_lo, 0, v27, vcc_lo
	v_add_nc_u64_e32 v[26:27], v[38:39], v[26:27]
	s_delay_alu instid0(VALU_DEP_1) | instskip(NEXT) | instid1(VALU_DEP_1)
	v_add_co_u32 v26, vcc_lo, v18, v26
	v_add_co_ci_u32_e64 v18, null, v24, v27, vcc_lo
	v_mov_b32_e32 v27, v10
	v_add_nc_u64_e32 v[22:23], v[34:35], v[50:51]
	s_delay_alu instid0(VALU_DEP_1) | instskip(NEXT) | instid1(VALU_DEP_2)
	v_xor_b32_e32 v24, v23, v50
	v_xor_b32_e32 v38, v22, v50
	s_delay_alu instid0(VALU_DEP_2) | instskip(NEXT) | instid1(VALU_DEP_2)
	v_mul_u64_e32 v[22:23], v[24:25], v[26:27]
	v_mul_u64_e32 v[48:49], v[38:39], v[18:19]
	;; [unrolled: 1-line block ×3, first 2 shown]
	v_mul_hi_u32 v26, v38, v26
	s_delay_alu instid0(VALU_DEP_1) | instskip(NEXT) | instid1(VALU_DEP_1)
	v_add_nc_u64_e32 v[26:27], v[26:27], v[48:49]
	v_add_co_u32 v7, vcc_lo, v26, v22
	s_delay_alu instid0(VALU_DEP_2) | instskip(SKIP_1) | instid1(VALU_DEP_1)
	v_add_co_ci_u32_e32 v10, vcc_lo, v27, v23, vcc_lo
	v_add_co_ci_u32_e32 v19, vcc_lo, 0, v19, vcc_lo
	v_add_nc_u64_e32 v[10:11], v[10:11], v[18:19]
	s_delay_alu instid0(VALU_DEP_1) | instskip(SKIP_1) | instid1(VALU_DEP_2)
	v_mul_u64_e32 v[18:19], v[8:9], v[10:11]
	v_add_nc_u64_e32 v[22:23], 1, v[10:11]
	v_sub_nc_u32_e32 v7, v24, v19
	s_delay_alu instid0(VALU_DEP_3) | instskip(NEXT) | instid1(VALU_DEP_1)
	v_sub_co_u32 v17, vcc_lo, v38, v18
	v_sub_co_ci_u32_e64 v20, null, v24, v19, vcc_lo
	s_delay_alu instid0(VALU_DEP_3) | instskip(NEXT) | instid1(VALU_DEP_3)
	v_sub_co_ci_u32_e64 v7, null, v7, v9, vcc_lo
	v_sub_co_u32 v18, s0, v17, v8
	s_delay_alu instid0(VALU_DEP_1) | instskip(NEXT) | instid1(VALU_DEP_2)
	v_subrev_co_ci_u32_e64 v7, null, 0, v7, s0
	v_cmp_ge_u32_e32 vcc_lo, v18, v8
	v_cndmask_b32_e64 v18, 0, -1, vcc_lo
	s_delay_alu instid0(VALU_DEP_3)
	v_cmp_ge_u32_e32 vcc_lo, v7, v9
	v_cndmask_b32_e64 v19, 0, -1, vcc_lo
	v_cmp_ge_u32_e32 vcc_lo, v17, v8
	v_cndmask_b32_e64 v8, 0, -1, vcc_lo
	;; [unrolled: 2-line block ×3, first 2 shown]
	v_cmp_eq_u32_e32 vcc_lo, v7, v9
	v_cndmask_b32_e32 v7, v19, v18, vcc_lo
	v_cmp_eq_u32_e32 vcc_lo, v20, v9
	v_add_nc_u64_e32 v[18:19], 2, v[10:11]
	v_cndmask_b32_e32 v8, v17, v8, vcc_lo
	s_delay_alu instid0(VALU_DEP_4) | instskip(NEXT) | instid1(VALU_DEP_2)
	v_cmp_ne_u32_e32 vcc_lo, 0, v7
	v_cmp_ne_u32_e64 s0, 0, v8
	s_delay_alu instid0(VALU_DEP_4) | instskip(NEXT) | instid1(VALU_DEP_1)
	v_dual_cndmask_b32 v7, v23, v19 :: v_dual_cndmask_b32 v8, v22, v18
	v_dual_cndmask_b32 v9, v11, v7, s0 :: v_dual_bitop2_b32 v6, v50, v6 bitop3:0x14
	s_delay_alu instid0(VALU_DEP_1) | instskip(NEXT) | instid1(VALU_DEP_1)
	v_dual_cndmask_b32 v8, v10, v8, s0 :: v_dual_bitop2_b32 v9, v9, v6 bitop3:0x14
	v_dual_mov_b32 v7, v6 :: v_dual_bitop2_b32 v8, v8, v6 bitop3:0x14
	s_delay_alu instid0(VALU_DEP_1)
	v_sub_nc_u64_e32 v[50:51], v[8:9], v[6:7]
.LBB2_14:
	s_or_saveexec_b32 s0, s1
	v_mul_u64_e32 v[4:5], v[28:29], v[4:5]
	s_xor_b32 exec_lo, exec_lo, s0
	s_cbranch_execz .LBB2_16
; %bb.15:
	v_cvt_f32_u32_e32 v4, v36
	v_dual_mov_b32 v51, 0 :: v_dual_sub_nc_u32 v6, 0, v36
	s_delay_alu instid0(VALU_DEP_2) | instskip(SKIP_1) | instid1(TRANS32_DEP_1)
	v_rcp_iflag_f32_e32 v4, v4
	v_nop
	v_mul_f32_e32 v4, 0x4f7ffffe, v4
	s_delay_alu instid0(VALU_DEP_1) | instskip(NEXT) | instid1(VALU_DEP_1)
	v_cvt_u32_f32_e32 v4, v4
	v_mul_lo_u32 v6, v6, v4
	s_delay_alu instid0(VALU_DEP_1) | instskip(NEXT) | instid1(VALU_DEP_1)
	v_mul_hi_u32 v6, v4, v6
	v_add_nc_u32_e32 v4, v4, v6
	s_delay_alu instid0(VALU_DEP_1) | instskip(NEXT) | instid1(VALU_DEP_1)
	v_mul_hi_u32 v4, v34, v4
	v_mul_lo_u32 v6, v4, v36
	s_delay_alu instid0(VALU_DEP_1) | instskip(NEXT) | instid1(VALU_DEP_1)
	v_dual_add_nc_u32 v7, 1, v4 :: v_dual_sub_nc_u32 v6, v34, v6
	v_cmp_ge_u32_e32 vcc_lo, v6, v36
	s_delay_alu instid0(VALU_DEP_2) | instskip(NEXT) | instid1(VALU_DEP_1)
	v_cndmask_b32_e32 v4, v4, v7, vcc_lo
	v_add_nc_u32_e32 v7, 1, v4
	v_sub_nc_u32_e32 v8, v6, v36
	s_delay_alu instid0(VALU_DEP_1) | instskip(NEXT) | instid1(VALU_DEP_1)
	v_cndmask_b32_e32 v6, v6, v8, vcc_lo
	v_cmp_ge_u32_e32 vcc_lo, v6, v36
	s_delay_alu instid0(VALU_DEP_4)
	v_cndmask_b32_e32 v50, v4, v7, vcc_lo
.LBB2_16:
	s_or_b32 exec_lo, exec_lo, s0
	s_trap 2
	ds_load_b64 v[6:7], v0
	v_mul_lo_u32 v4, v5, v16
	s_mov_b32 s3, 0
	s_mov_b32 s4, exec_lo
	s_delay_alu instid0(VALU_DEP_1) | instskip(SKIP_4) | instid1(VALU_DEP_2)
	v_sub_nc_u32_e32 v8, v28, v4
	s_wait_dscnt 0x0
	v_cmp_ne_u32_e32 vcc_lo, -1, v6
	v_cndmask_b32_e64 v30, 0, 1, vcc_lo
	v_cmp_ne_u32_e32 vcc_lo, -1, v7
	v_add_co_ci_u32_e64 v4, null, 0, v30, vcc_lo
	s_delay_alu instid0(VALU_DEP_1) | instskip(SKIP_2) | instid1(VALU_DEP_1)
	v_lshlrev_b32_e32 v7, 1, v4
	v_sub_nc_u32_e32 v6, v8, v16
	v_cmp_ge_u32_e64 s1, v8, v16
	v_cndmask_b32_e64 v6, v8, v6, s1
	s_delay_alu instid0(VALU_DEP_1)
	v_cmp_ge_u32_e64 s0, v6, v16
	v_cmpx_le_u32_e64 v7, v1
	s_xor_b32 s17, exec_lo, s4
	s_cbranch_execz .LBB2_649
; %bb.17:
	flat_load_b128 v[8:11], v[2:3] offset:16
	s_trap 2
	s_load_b32 s2, s[8:9], 0x0
	s_bfe_u32 s4, ttmp6, 0x4000c
	s_and_b32 s5, ttmp6, 15
	s_add_co_i32 s4, s4, 1
	s_getreg_b32 s6, hwreg(HW_REG_IB_STS2, 6, 4)
	s_mul_i32 s4, ttmp9, s4
	v_dual_mov_b32 v39, 0 :: v_dual_add_nc_u32 v6, 1, v5
	s_add_co_i32 s5, s5, s4
	s_cmp_eq_u32 s6, 0
	v_ashrrev_i32_e32 v33, 31, v15
	s_cselect_b32 s4, ttmp9, s5
	v_cndmask_b32_e64 v5, v5, v6, s1
	v_bfe_i32 v6, v21, 30, 1
	v_cvt_f32_u32_e32 v16, v21
	v_mov_b32_e32 v82, 4
	s_mov_b32 s1, exec_lo
	s_delay_alu instid0(VALU_DEP_3) | instskip(SKIP_3) | instid1(VALU_DEP_1)
	v_dual_add_nc_u32 v7, 1, v5 :: v_dual_bitop2_b32 v6, v33, v6 bitop3:0x14
	s_wait_kmcnt 0x0
	s_cmp_lt_u32 s4, s2
	s_cselect_b32 s2, 12, 18
	v_cndmask_b32_e64 v5, v5, v7, s0
	s_add_nc_u64 s[2:3], s[8:9], s[2:3]
	v_rcp_iflag_f32_e32 v7, v16
	global_load_u16 v55, v39, s[2:3]
	ds_load_b32 v16, v0
	v_xor_b32_e32 v5, v5, v6
	s_delay_alu instid0(VALU_DEP_1) | instskip(SKIP_1) | instid1(VALU_DEP_2)
	v_dual_mul_f32 v5, 0x4f7ffffe, v7 :: v_dual_sub_nc_u32 v54, v5, v6
	v_sub_nc_u32_e32 v6, 0, v21
	v_mul_lo_u32 v7, v54, v14
	s_delay_alu instid0(VALU_DEP_3) | instskip(NEXT) | instid1(VALU_DEP_1)
	v_cvt_u32_f32_e32 v5, v5
	v_mul_lo_u32 v6, v6, v5
	s_wait_dscnt 0x0
	v_readfirstlane_b32 s5, v16
	s_delay_alu instid0(VALU_DEP_4)
	v_sub_nc_u32_e32 v64, v15, v7
	s_wait_xcnt 0x0
	v_cmpx_ge_i32_e64 v0, v30
	s_cbranch_execz .LBB2_27
; %bb.18:
	v_cmp_ge_u32_e64 s0, v0, v4
                                        ; implicit-def: $vgpr82
	s_and_saveexec_b32 s2, s0
	s_delay_alu instid0(SALU_CYCLE_1)
	s_xor_b32 s0, exec_lo, s2
	s_cbranch_execz .LBB2_24
; %bb.19:
	v_cndmask_b32_e64 v7, 0, 1, vcc_lo
	s_mov_b32 s2, exec_lo
	s_delay_alu instid0(VALU_DEP_1) | instskip(NEXT) | instid1(VALU_DEP_1)
	v_sub_nc_u32_e32 v7, v1, v7
	v_cmpx_ge_u32_e64 v0, v7
	s_xor_b32 s2, exec_lo, s2
; %bb.20:
                                        ; implicit-def: $vgpr4
; %bb.21:
	s_delay_alu instid0(SALU_CYCLE_1)
	s_or_saveexec_b32 s2, s2
	v_mov_b32_e32 v82, 16
	s_xor_b32 exec_lo, exec_lo, s2
; %bb.22:
	v_sub_nc_u32_e32 v4, v1, v4
	s_delay_alu instid0(VALU_DEP_1)
	v_cmp_lt_i32_e32 vcc_lo, v0, v4
	v_cndmask_b32_e64 v82, 32, 0, vcc_lo
; %bb.23:
	s_or_b32 exec_lo, exec_lo, s2
.LBB2_24:
	s_and_not1_saveexec_b32 s0, s0
; %bb.25:
	v_mov_b32_e32 v82, 8
; %bb.26:
	s_or_b32 exec_lo, exec_lo, s0
.LBB2_27:
	s_delay_alu instid0(SALU_CYCLE_1) | instskip(SKIP_1) | instid1(VALU_DEP_2)
	s_or_b32 exec_lo, exec_lo, s1
	v_mul_hi_u32 v4, v5, v6
	v_dual_sub_nc_u32 v7, 0, v64 :: v_dual_bitop2_b32 v6, 36, v82 bitop3:0x40
	v_mov_b32_e32 v65, -1
	s_delay_alu instid0(VALU_DEP_2)
	v_cmp_ne_u32_e32 vcc_lo, 0, v6
	s_and_saveexec_b32 s0, vcc_lo
	s_cbranch_execz .LBB2_29
; %bb.28:
	s_trap 2
	ds_load_b32 v65, v0
.LBB2_29:
	s_or_b32 exec_lo, exec_lo, s0
	s_delay_alu instid0(VALU_DEP_4) | instskip(SKIP_2) | instid1(VALU_DEP_2)
	v_dual_add_nc_u32 v6, v5, v4 :: v_dual_bitop2_b32 v14, 24, v82 bitop3:0x40
	v_max_i32_e32 v38, v64, v7
	s_mov_b32 s1, exec_lo
	v_cmpx_ne_u32_e32 0, v14
	s_cbranch_execz .LBB2_31
; %bb.30:
	s_trap 2
	s_wait_dscnt 0x0
	ds_load_b32 v65, v0
.LBB2_31:
	s_or_b32 exec_lo, exec_lo, s1
	v_mov_b64_e32 v[16:17], 0
	v_mov_b64_e32 v[4:5], 0
	v_mov_b32_e32 v7, v29
                                        ; implicit-def: $vgpr14_vgpr15
                                        ; implicit-def: $vgpr20
                                        ; implicit-def: $vgpr26_vgpr27
                                        ; implicit-def: $vgpr84_vgpr85
                                        ; implicit-def: $vgpr22_vgpr23
                                        ; implicit-def: $vgpr18_vgpr19
	s_and_saveexec_b32 s0, vcc_lo
	s_cbranch_execz .LBB2_41
; %bb.32:
	s_trap 2
	ds_load_b64 v[4:5], v0
	s_mov_b32 s1, exec_lo
                                        ; implicit-def: $vgpr14_vgpr15
	s_wait_dscnt 0x0
	v_readfirstlane_b32 s2, v4
	v_readfirstlane_b32 s3, v5
	flat_load_b64 v[24:25], v65, s[2:3] scale_offset
	s_wait_loadcnt_dscnt 0x0
	flat_load_b32 v4, v[24:25] offset:640
	s_wait_loadcnt_dscnt 0x0
	v_cmpx_eq_u32_e32 1, v4
	s_cbranch_execz .LBB2_34
; %bb.33:
	flat_load_b64 v[14:15], v[24:25] offset:648
	v_or_b32_e32 v82, 0x2000, v82
	s_wait_loadcnt_dscnt 0x0
	flat_load_b64 v[4:5], v[14:15]
	s_trap 2
	s_wait_loadcnt_dscnt 0x0
	ds_store_b64 v0, v[4:5]
	flat_load_b64 v[4:5], v[14:15] offset:8
	s_wait_loadcnt_dscnt 0x0
	ds_store_b64 v0, v[4:5]
	flat_load_b64 v[4:5], v[14:15] offset:16
	s_wait_loadcnt_dscnt 0x0
	ds_store_b64 v0, v[4:5]
.LBB2_34:
	s_wait_xcnt 0x0
	s_or_b32 exec_lo, exec_lo, s1
	flat_load_b64 v[4:5], v[24:25] offset:608
	s_mov_b32 s1, exec_lo
                                        ; implicit-def: $vgpr18_vgpr19
	s_wait_loadcnt_dscnt 0x0
	v_add_nc_u64_e32 v[84:85], 3, v[4:5]
	v_and_b32_e32 v4, 32, v82
	s_delay_alu instid0(VALU_DEP_2) | instskip(SKIP_1) | instid1(VALU_DEP_2)
	v_and_b32_e32 v84, -4, v84
	s_wait_xcnt 0x0
	v_cmpx_ne_u32_e32 0, v4
	s_cbranch_execz .LBB2_36
; %bb.35:
	flat_load_b64 v[18:19], v[24:25] offset:560
	global_wb scope:SCOPE_SYS
	s_wait_storecnt 0x0
	s_wait_xcnt 0x0
	s_wait_loadcnt_dscnt 0x0
	flat_store_b64 v[18:19], v[84:85] scope:SCOPE_SYS
.LBB2_36:
	s_wait_xcnt 0x0
	s_or_b32 exec_lo, exec_lo, s1
	v_and_b32_e32 v20, 4, v82
	v_add_nc_u64_e32 v[16:17], 0x1f8, v[24:25]
	v_mov_b64_e32 v[4:5], 0
                                        ; implicit-def: $vgpr26_vgpr27
                                        ; implicit-def: $vgpr22_vgpr23
	s_delay_alu instid0(VALU_DEP_3)
	v_cmp_ne_u32_e32 vcc_lo, 0, v20
                                        ; implicit-def: $vgpr20
	s_and_saveexec_b32 s1, vcc_lo
	s_cbranch_execz .LBB2_40
; %bb.37:
	v_and_b32_e32 v4, 0x800, v82
	s_mov_b32 s2, exec_lo
	s_delay_alu instid0(VALU_DEP_1)
	v_cmpx_eq_u32_e32 0, v4
	s_cbranch_execz .LBB2_39
; %bb.38:
	s_trap 2
	ds_store_b64 v0, v[16:17]
.LBB2_39:
	s_or_b32 exec_lo, exec_lo, s2
	flat_load_b64 v[18:19], v[24:25] offset:552
	s_wait_loadcnt_dscnt 0x0
	flat_load_b64 v[26:27], v[18:19] scope:SCOPE_SYS
	s_clause 0x2
	flat_load_b64 v[4:5], v[24:25] offset:600
	flat_load_b32 v20, v[24:25] offset:576
	flat_load_b64 v[22:23], v[24:25] offset:520
	s_wait_xcnt 0x0
	v_or_b32_e32 v24, 0x100, v82
	s_wait_loadcnt_dscnt 0x202
	v_cmp_eq_u64_e32 vcc_lo, 0, v[4:5]
	s_delay_alu instid0(VALU_DEP_2)
	v_cndmask_b32_e32 v82, v24, v82, vcc_lo
.LBB2_40:
	s_or_b32 exec_lo, exec_lo, s1
.LBB2_41:
	s_delay_alu instid0(SALU_CYCLE_1) | instskip(NEXT) | instid1(VALU_DEP_1)
	s_or_b32 exec_lo, exec_lo, s0
	v_mul_u64_e32 v[52:53], v[28:29], v[6:7]
	v_mul_u64_e32 v[48:49], v[38:39], v[6:7]
	v_dual_ashrrev_i32 v39, 31, v64 :: v_dual_bitop2_b32 v6, 24, v82 bitop3:0x40
	s_mov_b32 s0, exec_lo
                                        ; implicit-def: $vgpr24_vgpr25
	s_delay_alu instid0(VALU_DEP_1)
	v_cmpx_ne_u32_e32 0, v6
	s_cbranch_execz .LBB2_49
; %bb.42:
	s_trap 2
	ds_load_b64 v[4:5], v0
	v_or_b32_e32 v24, 0x100, v82
	s_wait_dscnt 0x0
	v_readfirstlane_b32 s2, v4
	v_readfirstlane_b32 s3, v5
	flat_load_b64 v[16:17], v65, s[2:3] scale_offset
	s_wait_loadcnt_dscnt 0x0
	flat_load_b128 v[4:7], v[16:17] offset:96
	s_wait_loadcnt_dscnt 0x0
	v_cmp_eq_u64_e32 vcc_lo, 0, v[4:5]
	v_cndmask_b32_e32 v82, v24, v82, vcc_lo
	s_delay_alu instid0(VALU_DEP_1) | instskip(NEXT) | instid1(VALU_DEP_1)
	v_and_b32_e32 v24, 16, v82
	v_cmp_ne_u32_e32 vcc_lo, 0, v24
                                        ; implicit-def: $vgpr24_vgpr25
	s_wait_xcnt 0x0
	s_and_saveexec_b32 s1, vcc_lo
	s_cbranch_execz .LBB2_44
; %bb.43:
	s_clause 0x2
	flat_load_b64 v[18:19], v[16:17] offset:48
	flat_load_b64 v[24:25], v[16:17] offset:120
	;; [unrolled: 1-line block ×3, first 2 shown]
.LBB2_44:
	s_wait_xcnt 0x0
	s_or_b32 exec_lo, exec_lo, s1
	v_add_nc_u64_e32 v[84:85], 3, v[6:7]
	v_and_b32_e32 v6, 8, v82
	s_mov_b32 s1, exec_lo
	s_delay_alu instid0(VALU_DEP_2) | instskip(NEXT) | instid1(VALU_DEP_2)
	v_and_b32_e32 v84, -4, v84
	v_cmpx_ne_u32_e32 0, v6
	s_cbranch_execz .LBB2_48
; %bb.45:
	v_and_b32_e32 v6, 0x800, v82
	s_mov_b32 s2, exec_lo
	s_delay_alu instid0(VALU_DEP_1)
	v_cmpx_eq_u32_e32 0, v6
	s_cbranch_execz .LBB2_47
; %bb.46:
	s_trap 2
	ds_store_b64 v0, v[16:17]
.LBB2_47:
	s_or_b32 exec_lo, exec_lo, s2
	s_wait_loadcnt_dscnt 0x202
	flat_load_b64 v[18:19], v[16:17] offset:56
	s_wait_loadcnt_dscnt 0x0
	flat_load_b64 v[26:27], v[18:19] scope:SCOPE_SYS
	s_clause 0x1
	flat_load_b32 v20, v[16:17] offset:72
	flat_load_b64 v[22:23], v[16:17] offset:16
.LBB2_48:
	s_wait_xcnt 0x0
	s_or_b32 exec_lo, exec_lo, s1
.LBB2_49:
	s_delay_alu instid0(SALU_CYCLE_1)
	s_or_b32 exec_lo, exec_lo, s0
	v_cmp_eq_u32_e64 s0, 0, v0
	s_and_saveexec_b32 s1, s0
	s_cbranch_execz .LBB2_51
; %bb.50:
	s_wait_loadcnt 0x1
	v_dual_mov_b32 v6, v10 :: v_dual_mov_b32 v7, v11
	v_mov_b64_e32 v[10:11], 0
	ds_store_2addr_b64 v0, v[6:7], v[8:9] offset1:1
	s_trap 2
	ds_store_b64 v0, v[10:11]
.LBB2_51:
	s_or_b32 exec_lo, exec_lo, s1
	s_wait_loadcnt 0x1
	v_mov_b64_e32 v[10:11], 0
	s_wait_loadcnt 0x0
	v_and_b32_e32 v56, 0xffff, v55
	v_cmp_ne_u32_e64 s1, 32, v1
	s_cmp_lt_i32 s16, -1
	s_mov_b32 s18, -1
	s_cbranch_scc1 .LBB2_615
; %bb.52:
	v_mul_u64_e32 v[8:9], v[50:51], v[36:37]
	v_mul_lo_u32 v6, v53, v21
	s_mov_b32 s13, 0
	s_abs_i32 s19, s16
	s_lshr_b32 s6, s16, 31
	s_cvt_f32_u32 s11, s19
	s_ashr_i32 s7, s5, 31
	s_add_co_i32 s6, s16, s6
	s_lshr_b32 s7, s7, 25
	v_rcp_iflag_f32_e32 v71, s11
	s_ashr_i32 s20, s6, 1
	s_delay_alu instid0(VALU_DEP_1) | instskip(SKIP_3) | instid1(TRANS32_DEP_1)
	v_dual_mov_b32 v11, s13 :: v_dual_sub_nc_u32 v6, v28, v6
	s_add_co_i32 s6, s5, s7
	s_sub_co_i32 s12, 0, s19
	v_cmp_eq_u32_e64 s10, 32, v1
	v_readfirstlane_b32 s5, v71
	v_cmp_ge_u32_e32 vcc_lo, v6, v21
	s_wait_dscnt 0x1
	v_cmp_eq_u64_e64 s3, 0, v[24:25]
	v_cmp_ne_u64_e64 s4, 0, v[24:25]
	v_and_b32_e32 v32, 0x3ffffe00, v32
	s_mul_f32 s7, s5, 0x4f7ffffe
	v_cmp_ne_u32_e64 s2, v1, v56
	s_ashr_i32 s21, s6, 7
	v_mov_b32_e32 v59, 0x88
	s_cvt_u32_f32 s14, s7
	s_mov_b32 s15, s13
	s_xor_b32 s22, s10, -1
	s_mov_b32 s23, 0
	s_mul_i32 s12, s12, s14
	s_trap 2
	s_mul_hi_u32 s12, s14, s12
	v_sub_nc_u64_e32 v[8:9], v[34:35], v[8:9]
	v_sub_nc_u32_e32 v7, v6, v21
	s_add_co_i32 s14, s14, s12
	v_dual_add_nc_u32 v9, 1, v49 :: v_dual_mov_b32 v35, 0
	s_delay_alu instid0(VALU_DEP_2) | instskip(SKIP_1) | instid1(VALU_DEP_3)
	v_dual_mov_b32 v57, 1 :: v_dual_cndmask_b32 v6, v6, v7
	v_dual_ashrrev_i32 v34, 31, v0 :: v_dual_lshrrev_b32 v36, 5, v1
	v_dual_mov_b32 v37, v35 :: v_dual_bitop2_b32 v70, 31, v31 bitop3:0x40
	s_delay_alu instid0(VALU_DEP_3) | instskip(SKIP_1) | instid1(VALU_DEP_4)
	v_sub_nc_u32_e32 v7, v6, v21
	v_cmp_ge_u32_e32 vcc_lo, v6, v21
	v_lshrrev_b32_e32 v64, 27, v34
	s_delay_alu instid0(VALU_DEP_4) | instskip(NEXT) | instid1(VALU_DEP_4)
	v_cmp_eq_u32_e64 s5, 0, v70
	v_cndmask_b32_e32 v6, v6, v7, vcc_lo
	v_mul_lo_u32 v7, v49, v21
	s_delay_alu instid0(VALU_DEP_1) | instskip(NEXT) | instid1(VALU_DEP_3)
	v_sub_nc_u32_e32 v7, v38, v7
	v_xor_b32_e32 v6, v6, v33
	v_and_b32_e32 v38, 0x1fe0, v1
	s_delay_alu instid0(VALU_DEP_2) | instskip(NEXT) | instid1(VALU_DEP_1)
	v_sub_nc_u32_e32 v6, v6, v33
	v_mad_u32 v6, v54, v21, v6
	v_lshlrev_b32_e32 v54, 8, v36
	s_delay_alu instid0(VALU_DEP_2) | instskip(SKIP_2) | instid1(VALU_DEP_2)
	v_cmp_lt_i32_e32 vcc_lo, v6, v8
	v_cndmask_b32_e64 v10, 0, 1, vcc_lo
	v_cmp_ge_u32_e32 vcc_lo, v7, v21
	v_add_nc_u64_e32 v[10:11], v[50:51], v[10:11]
	v_cndmask_b32_e32 v9, v49, v9, vcc_lo
	v_sub_nc_u32_e32 v33, v7, v21
	v_mov_b64_e32 v[48:49], 0
	s_delay_alu instid0(VALU_DEP_4) | instskip(NEXT) | instid1(VALU_DEP_3)
	v_mul_u64_e32 v[28:29], v[10:11], v[66:67]
	v_cndmask_b32_e32 v7, v7, v33, vcc_lo
	v_dual_mov_b32 v33, v35 :: v_dual_add_nc_u32 v10, 1, v9
	s_delay_alu instid0(VALU_DEP_2) | instskip(NEXT) | instid1(VALU_DEP_2)
	v_cmp_ge_u32_e32 vcc_lo, v7, v21
	v_dual_ashrrev_i32 v21, 31, v20 :: v_dual_cndmask_b32 v7, v9, v10, vcc_lo
	v_ashrrev_i32_e32 v9, 31, v8
	v_cmp_ge_i32_e32 vcc_lo, v0, v1
	s_delay_alu instid0(VALU_DEP_3) | instskip(NEXT) | instid1(VALU_DEP_1)
	v_dual_ashrrev_i32 v7, 31, v6 :: v_dual_bitop2_b32 v10, v7, v39 bitop3:0x14
	v_sub_nc_u32_e32 v80, v10, v39
	s_delay_alu instid0(VALU_DEP_2)
	v_min_i64 v[52:53], v[6:7], v[8:9]
	v_min_i32_e32 v8, v6, v8
	v_mul_lo_u32 v39, v51, v6
	v_mul_lo_u32 v55, v50, v7
	v_ashrrev_i32_e32 v81, 31, v80
	v_cmp_eq_u32_e64 s11, 0, v80
	v_ashrrev_i32_e32 v9, 31, v8
	v_mov_b64_e32 v[10:11], 0
	v_mov_b32_e32 v51, v35
	v_mul_u64_e32 v[68:69], v[28:29], v[80:81]
	s_delay_alu instid0(VALU_DEP_4) | instskip(SKIP_1) | instid1(VALU_DEP_2)
	v_mad_nc_u64_u32 v[8:9], v50, v6, v[8:9]
	v_add_nc_u32_e32 v81, v0, v64
	v_add3_u32 v9, v39, v9, v55
	s_wait_dscnt 0x0
	s_delay_alu instid0(VALU_DEP_1) | instskip(SKIP_3) | instid1(VALU_DEP_3)
	v_mul_u64_e32 v[64:65], v[8:9], v[66:67]
	v_mad_nc_u64_u32 v[6:7], v50, v6, v[52:53]
	v_dual_lshlrev_b32 v50, 10, v36 :: v_dual_lshlrev_b32 v52, 9, v36
	v_dual_mov_b32 v53, v35 :: v_dual_lshrrev_b32 v34, 31, v69
	v_add3_u32 v7, v39, v7, v55
	v_mov_b32_e32 v55, v35
	s_delay_alu instid0(VALU_DEP_3) | instskip(NEXT) | instid1(VALU_DEP_3)
	v_add_nc_u64_e32 v[8:9], v[68:69], v[34:35]
	v_mul_u64_e32 v[66:67], v[6:7], v[66:67]
	v_lshrrev_b32_e32 v34, 31, v29
	v_and_b32_e32 v68, 0xffffffe0, v81
	v_mov_b32_e32 v39, v35
	s_delay_alu instid0(VALU_DEP_3) | instskip(NEXT) | instid1(VALU_DEP_3)
	v_add_nc_u64_e32 v[6:7], v[28:29], v[34:35]
	v_dual_sub_nc_u32 v58, v0, v68 :: v_dual_ashrrev_i32 v68, 5, v81
	v_ashrrev_i64 v[80:81], 1, v[8:9]
	s_delay_alu instid0(VALU_DEP_2) | instskip(NEXT) | instid1(VALU_DEP_4)
	v_lshlrev_b32_e32 v34, 4, v58
	v_ashrrev_i64 v[6:7], 1, v[6:7]
	v_cmp_gt_i32_e64 s6, 1, v58
	v_cmp_lt_i32_e64 s7, v58, v30
	s_delay_alu instid0(VALU_DEP_4) | instskip(SKIP_2) | instid1(VALU_DEP_1)
	v_lshl_add_u32 v70, v68, 10, v34
	v_ashrrev_i32_e32 v69, 31, v68
	v_sub_nc_u64_e32 v[86:87], v[28:29], v[6:7]
	v_dual_ashrrev_i32 v71, 31, v70 :: v_dual_cndmask_b32 v83, v87, v7, s11
	s_delay_alu instid0(VALU_DEP_2)
	v_cndmask_b32_e64 v30, v86, v6, s11
	s_xor_b32 s11, vcc_lo, -1
.LBB2_53:                               ; =>This Loop Header: Depth=1
                                        ;     Child Loop BB2_62 Depth 2
                                        ;     Child Loop BB2_69 Depth 2
	;; [unrolled: 1-line block ×5, first 2 shown]
                                        ;       Child Loop BB2_93 Depth 3
                                        ;         Child Loop BB2_101 Depth 4
                                        ;         Child Loop BB2_125 Depth 4
	;; [unrolled: 1-line block ×8, first 2 shown]
                                        ;       Child Loop BB2_214 Depth 3
                                        ;         Child Loop BB2_220 Depth 4
                                        ;         Child Loop BB2_244 Depth 4
                                        ;       Child Loop BB2_265 Depth 3
                                        ;         Child Loop BB2_268 Depth 4
                                        ;           Child Loop BB2_276 Depth 5
                                        ;           Child Loop BB2_304 Depth 5
	;; [unrolled: 1-line block ×8, first 2 shown]
                                        ;         Child Loop BB2_393 Depth 4
                                        ;           Child Loop BB2_399 Depth 5
                                        ;           Child Loop BB2_427 Depth 5
                                        ;       Child Loop BB2_447 Depth 3
                                        ;         Child Loop BB2_455 Depth 4
                                        ;         Child Loop BB2_479 Depth 4
	;; [unrolled: 1-line block ×8, first 2 shown]
                                        ;       Child Loop BB2_566 Depth 3
                                        ;         Child Loop BB2_572 Depth 4
                                        ;         Child Loop BB2_596 Depth 4
	s_sub_co_i32 s10, s16, s23
	s_trap 2
	s_abs_i32 s12, s10
	ds_load_b64 v[6:7], v0
	s_mul_u64 s[24:25], s[12:13], s[14:15]
	s_ashr_i32 s10, s10, 31
	s_mul_i32 s24, s25, s19
	s_delay_alu instid0(SALU_CYCLE_1) | instskip(NEXT) | instid1(SALU_CYCLE_1)
	s_sub_co_i32 s12, s12, s24
	s_sub_co_i32 s24, s12, s19
	s_cmp_ge_u32 s12, s19
	s_cselect_b32 s12, s24, s12
	s_delay_alu instid0(SALU_CYCLE_1) | instskip(SKIP_2) | instid1(SALU_CYCLE_1)
	s_sub_co_i32 s24, s12, s19
	s_cmp_ge_u32 s12, s19
	s_cselect_b32 s12, s24, s12
	s_xor_b32 s12, s12, s10
	s_delay_alu instid0(SALU_CYCLE_1)
	s_sub_co_i32 s10, s12, s10
	v_mov_b32_e32 v8, s23
	s_wait_dscnt 0x0
	v_readfirstlane_b32 s24, v6
	v_readfirstlane_b32 s25, v7
	v_mov_b32_e32 v7, s10
	s_cmp_lg_u32 s23, 0
	s_clause 0x1
	flat_load_b32 v6, v8, s[24:25] scale_offset
	flat_load_b32 v8, v7, s[24:25] scale_offset
	s_wait_xcnt 0x0
	s_cselect_b32 s24, -1, 0
	s_wait_loadcnt_dscnt 0x0
	v_dual_ashrrev_i32 v7, 31, v6 :: v_dual_ashrrev_i32 v9, 31, v8
	v_cmp_eq_u32_e32 vcc_lo, v8, v6
	s_delay_alu instid0(VALU_DEP_2) | instskip(NEXT) | instid1(VALU_DEP_3)
	v_mul_u64_e32 v[100:101], v[12:13], v[6:7]
	v_mul_u64_e32 v[102:103], v[12:13], v[8:9]
	v_dual_cndmask_b32 v113, 0, v81 :: v_dual_cndmask_b32 v112, 0, v80
	v_dual_cndmask_b32 v87, v29, v83 :: v_dual_cndmask_b32 v86, v28, v30
	s_and_b32 vcc_lo, exec_lo, s24
	s_delay_alu instid0(VALU_DEP_4) | instskip(NEXT) | instid1(VALU_DEP_4)
	v_add_nc_u64_e32 v[6:7], v[100:101], v[64:65]
	v_add_nc_u64_e32 v[8:9], v[102:103], v[64:65]
	s_delay_alu instid0(VALU_DEP_2) | instskip(NEXT) | instid1(VALU_DEP_2)
	v_add_nc_u64_e32 v[96:97], v[6:7], v[112:113]
	v_add_nc_u64_e32 v[98:99], v[8:9], v[112:113]
	s_cbranch_vccz .LBB2_55
; %bb.54:                               ;   in Loop: Header=BB2_53 Depth=1
	s_and_saveexec_b32 s12, s24
	s_cbranch_execnz .LBB2_85
	s_branch .LBB2_613
.LBB2_55:                               ;   in Loop: Header=BB2_53 Depth=1
	flat_load_b128 v[6:9], v[2:3] offset:16
	s_mov_b32 s24, -1
	s_mov_b32 s10, exec_lo
	s_wait_loadcnt_dscnt 0x0
	v_cmpx_ne_u64_e64 v[8:9], v[6:7]
	s_cbranch_execz .LBB2_84
; %bb.56:                               ;   in Loop: Header=BB2_53 Depth=1
	s_mov_b32 s24, 0
	s_and_saveexec_b32 s12, s6
; %bb.57:                               ;   in Loop: Header=BB2_53 Depth=1
	v_dual_add_nc_u32 v34, v8, v96 :: v_dual_add_nc_u32 v114, v6, v98
	s_delay_alu instid0(VALU_DEP_1) | instskip(NEXT) | instid1(VALU_DEP_1)
	v_bitop3_b32 v34, v34, 15, v114 bitop3:0xc8
	v_cmp_ne_u32_e32 vcc_lo, 0, v34
	s_and_b32 s24, vcc_lo, exec_lo
; %bb.58:                               ;   in Loop: Header=BB2_53 Depth=1
	s_or_b32 exec_lo, exec_lo, s12
	v_cndmask_b32_e64 v34, 0, 1, s24
	s_delay_alu instid0(VALU_DEP_1)
	v_cmp_ne_u32_e32 vcc_lo, 0, v34
	s_cbranch_vccz .LBB2_60
; %bb.59:                               ;   in Loop: Header=BB2_53 Depth=1
	v_mov_b64_e32 v[114:115], 0
	v_mov_b64_e32 v[116:117], v[86:87]
	v_dual_mov_b32 v60, v0 :: v_dual_mov_b32 v40, v68
	v_mov_b64_e32 v[44:45], v[68:69]
	s_mov_b32 s24, -1
	s_delay_alu instid0(SALU_CYCLE_1)
	s_and_saveexec_b32 s12, s24
	s_cbranch_execnz .LBB2_75
	s_branch .LBB2_83
.LBB2_60:                               ;   in Loop: Header=BB2_53 Depth=1
	v_ashrrev_i32_e32 v34, 31, v87
	s_mov_b32 s12, exec_lo
	s_delay_alu instid0(VALU_DEP_1) | instskip(NEXT) | instid1(VALU_DEP_1)
	v_lshrrev_b32_e32 v34, 22, v34
	v_add_nc_u64_e32 v[114:115], v[86:87], v[34:35]
	s_delay_alu instid0(VALU_DEP_1) | instskip(NEXT) | instid1(VALU_DEP_1)
	v_ashrrev_i64 v[114:115], 10, v[114:115]
	v_sub_nc_u64_e32 v[118:119], v[114:115], v[68:69]
	s_delay_alu instid0(VALU_DEP_1)
	v_cmpx_lt_i64_e32 0, v[118:119]
	s_cbranch_execz .LBB2_64
; %bb.61:                               ;   in Loop: Header=BB2_53 Depth=1
	v_add_nc_u64_e32 v[116:117], v[66:67], v[112:113]
	s_mov_b32 s24, 0
	s_delay_alu instid0(VALU_DEP_1) | instskip(SKIP_1) | instid1(VALU_DEP_2)
	v_add_nc_u64_e32 v[40:41], v[116:117], v[8:9]
	v_add_nc_u64_e32 v[42:43], v[116:117], v[6:7]
	;; [unrolled: 1-line block ×3, first 2 shown]
	s_delay_alu instid0(VALU_DEP_2)
	v_add_nc_u64_e32 v[40:41], v[42:43], v[102:103]
.LBB2_62:                               ;   Parent Loop BB2_53 Depth=1
                                        ; =>  This Inner Loop Header: Depth=2
	s_delay_alu instid0(VALU_DEP_2)
	v_add_nc_u64_e32 v[46:47], v[70:71], v[116:117]
	v_sub_nc_u64_e32 v[118:119], v[118:119], v[36:37]
	v_add_nc_u64_e32 v[116:117], v[116:117], v[50:51]
	s_clause 0x1
	global_load_b128 v[42:45], v[46:47], off th:TH_LOAD_NT
	global_load_b128 v[60:63], v[46:47], off offset:512 th:TH_LOAD_NT
	v_cmp_gt_i64_e32 vcc_lo, 1, v[118:119]
	s_wait_xcnt 0x0
	v_add_nc_u64_e32 v[46:47], v[70:71], v[40:41]
	v_add_nc_u64_e32 v[40:41], v[40:41], v[50:51]
	s_wait_loadcnt 0x1
	global_store_b128 v[46:47], v[42:45], off th:TH_STORE_NT
	s_wait_loadcnt 0x0
	global_store_b128 v[46:47], v[60:63], off offset:512 th:TH_STORE_NT
	s_or_b32 s24, vcc_lo, s24
	s_wait_xcnt 0x0
	s_and_not1_b32 exec_lo, exec_lo, s24
	s_cbranch_execnz .LBB2_62
; %bb.63:                               ;   in Loop: Header=BB2_53 Depth=1
	s_or_b32 exec_lo, exec_lo, s24
.LBB2_64:                               ;   in Loop: Header=BB2_53 Depth=1
	s_delay_alu instid0(SALU_CYCLE_1) | instskip(SKIP_4) | instid1(VALU_DEP_2)
	s_or_b32 exec_lo, exec_lo, s12
	v_lshlrev_b64_e32 v[42:43], 10, v[114:115]
	v_mov_b64_e32 v[114:115], 0
	s_mov_b32 s24, 0
	s_mov_b32 s12, exec_lo
                                        ; implicit-def: $vgpr116_vgpr117
                                        ; implicit-def: $vgpr60
                                        ; implicit-def: $vgpr40
                                        ; implicit-def: $vgpr44_vgpr45
	v_cmpx_ne_u64_e64 v[86:87], v[42:43]
	s_cbranch_execz .LBB2_74
; %bb.65:                               ;   in Loop: Header=BB2_53 Depth=1
	v_sub_nc_u64_e32 v[40:41], v[86:87], v[42:43]
	s_mov_b32 s24, exec_lo
	s_delay_alu instid0(VALU_DEP_1) | instskip(NEXT) | instid1(VALU_DEP_1)
	v_ashrrev_i32_e32 v34, 31, v41
	v_lshrrev_b32_e32 v34, 23, v34
	s_delay_alu instid0(VALU_DEP_1) | instskip(NEXT) | instid1(VALU_DEP_1)
	v_add_nc_u64_e32 v[114:115], v[40:41], v[34:35]
	v_ashrrev_i64 v[44:45], 9, v[114:115]
	v_and_b32_e32 v114, 0xfffffe00, v114
	s_delay_alu instid0(VALU_DEP_1) | instskip(SKIP_1) | instid1(VALU_DEP_2)
	v_sub_nc_u64_e32 v[116:117], v[40:41], v[114:115]
	v_add_nc_u64_e32 v[114:115], v[114:115], v[42:43]
	v_cmpx_lt_i64_e32 15, v[116:117]
; %bb.66:                               ;   in Loop: Header=BB2_53 Depth=1
	v_and_b32_e32 v34, 15, v86
	v_add_nc_u64_e32 v[44:45], 1, v[44:45]
	s_delay_alu instid0(VALU_DEP_2) | instskip(NEXT) | instid1(VALU_DEP_1)
	v_sub_nc_u64_e32 v[116:117], v[116:117], v[34:35]
	v_add_nc_u64_e32 v[114:115], v[116:117], v[114:115]
	v_mov_b64_e32 v[116:117], v[34:35]
; %bb.67:                               ;   in Loop: Header=BB2_53 Depth=1
	s_or_b32 exec_lo, exec_lo, s24
	v_lshlrev_b32_e32 v34, 5, v118
	s_mov_b32 s24, exec_lo
	s_delay_alu instid0(VALU_DEP_1) | instskip(NEXT) | instid1(VALU_DEP_1)
	v_sub_nc_u32_e32 v34, v58, v34
	v_ashrrev_i32_e32 v118, 31, v34
	s_delay_alu instid0(VALU_DEP_1) | instskip(NEXT) | instid1(VALU_DEP_1)
	v_lshrrev_b32_e32 v118, 27, v118
	v_add_nc_u32_e32 v118, v34, v118
	s_delay_alu instid0(VALU_DEP_1) | instskip(NEXT) | instid1(VALU_DEP_1)
	v_and_b32_e32 v119, 0xffffffe0, v118
	v_dual_ashrrev_i32 v118, 5, v118 :: v_dual_sub_nc_u32 v34, v34, v119
	s_delay_alu instid0(VALU_DEP_1) | instskip(NEXT) | instid1(VALU_DEP_1)
	v_lshlrev_b32_e32 v119, 4, v34
	v_lshl_add_u32 v46, v118, 9, v119
	v_ashrrev_i32_e32 v119, 31, v118
	s_delay_alu instid0(VALU_DEP_2) | instskip(NEXT) | instid1(VALU_DEP_2)
	v_ashrrev_i32_e32 v47, 31, v46
	v_sub_nc_u64_e32 v[118:119], v[44:45], v[118:119]
	s_delay_alu instid0(VALU_DEP_2) | instskip(NEXT) | instid1(VALU_DEP_1)
	v_sub_nc_u64_e32 v[40:41], v[40:41], v[46:47]
	v_cmpx_lt_i64_e32 15, v[40:41]
	s_cbranch_execz .LBB2_71
; %bb.68:                               ;   in Loop: Header=BB2_53 Depth=1
	v_add_nc_u64_e32 v[44:45], v[64:65], v[112:113]
	s_mov_b32 s25, 0
	s_delay_alu instid0(VALU_DEP_1) | instskip(SKIP_1) | instid1(VALU_DEP_2)
	v_add_nc_u64_e32 v[44:45], v[44:45], v[42:43]
	v_add_nc_u64_e32 v[42:43], v[8:9], v[100:101]
	;; [unrolled: 1-line block ×4, first 2 shown]
.LBB2_69:                               ;   Parent Loop BB2_53 Depth=1
                                        ; =>  This Inner Loop Header: Depth=2
	s_delay_alu instid0(VALU_DEP_2) | instskip(SKIP_1) | instid1(VALU_DEP_3)
	v_add_nc_u64_e32 v[60:61], v[42:43], v[44:45]
	v_sub_nc_u64_e32 v[40:41], v[40:41], v[52:53]
	v_add_nc_u64_e32 v[72:73], v[46:47], v[44:45]
	v_sub_nc_u64_e32 v[118:119], v[118:119], v[36:37]
	v_add_nc_u64_e32 v[44:45], v[44:45], v[52:53]
	global_load_b128 v[60:63], v[60:61], off th:TH_LOAD_NT
	v_cmp_gt_i64_e32 vcc_lo, 16, v[40:41]
	s_or_b32 s25, vcc_lo, s25
	s_wait_loadcnt 0x0
	global_store_b128 v[72:73], v[60:63], off th:TH_STORE_NT
	s_wait_xcnt 0x0
	s_and_not1_b32 exec_lo, exec_lo, s25
	s_cbranch_execnz .LBB2_69
; %bb.70:                               ;   in Loop: Header=BB2_53 Depth=1
	s_or_b32 exec_lo, exec_lo, s25
.LBB2_71:                               ;   in Loop: Header=BB2_53 Depth=1
	s_delay_alu instid0(SALU_CYCLE_1)
	s_or_b32 exec_lo, exec_lo, s24
	s_mov_b32 s24, 0
	s_mov_b32 s25, exec_lo
                                        ; implicit-def: $vgpr60
                                        ; implicit-def: $vgpr40
                                        ; implicit-def: $vgpr44_vgpr45
	v_cmpx_ne_u64_e32 0, v[116:117]
	s_cbranch_execz .LBB2_73
; %bb.72:                               ;   in Loop: Header=BB2_53 Depth=1
	v_cmp_lt_i64_e32 vcc_lo, 0, v[118:119]
	s_mov_b32 s24, exec_lo
	v_cndmask_b32_e32 v119, 0, v36, vcc_lo
	s_delay_alu instid0(VALU_DEP_1) | instskip(NEXT) | instid1(VALU_DEP_1)
	v_sub_nc_u32_e32 v118, v119, v118
	v_lshl_add_u32 v60, v118, 5, v34
	s_delay_alu instid0(VALU_DEP_1) | instskip(NEXT) | instid1(VALU_DEP_1)
	v_ashrrev_i32_e32 v34, 31, v60
	v_lshrrev_b32_e32 v34, 27, v34
	s_delay_alu instid0(VALU_DEP_1) | instskip(NEXT) | instid1(VALU_DEP_1)
	v_add_nc_u32_e32 v34, v60, v34
	v_ashrrev_i32_e32 v40, 5, v34
	s_delay_alu instid0(VALU_DEP_1) | instskip(NEXT) | instid1(VALU_DEP_1)
	v_ashrrev_i32_e32 v41, 31, v40
	v_mov_b64_e32 v[44:45], v[40:41]
.LBB2_73:                               ;   in Loop: Header=BB2_53 Depth=1
	s_or_b32 exec_lo, exec_lo, s25
	s_delay_alu instid0(SALU_CYCLE_1)
	s_and_b32 s24, s24, exec_lo
.LBB2_74:                               ;   in Loop: Header=BB2_53 Depth=1
	s_or_b32 exec_lo, exec_lo, s12
	s_and_saveexec_b32 s12, s24
	s_cbranch_execz .LBB2_83
.LBB2_75:                               ;   in Loop: Header=BB2_53 Depth=1
	v_ashrrev_i32_e32 v34, 31, v117
	s_mov_b32 s24, exec_lo
	s_delay_alu instid0(VALU_DEP_1) | instskip(NEXT) | instid1(VALU_DEP_1)
	v_lshrrev_b32_e32 v34, 24, v34
	v_add_nc_u64_e32 v[118:119], v[116:117], v[34:35]
	v_ashrrev_i32_e32 v34, 31, v60
	s_delay_alu instid0(VALU_DEP_1) | instskip(NEXT) | instid1(VALU_DEP_3)
	v_lshrrev_b32_e32 v34, 27, v34
	v_ashrrev_i64 v[42:43], 8, v[118:119]
	s_delay_alu instid0(VALU_DEP_1) | instskip(NEXT) | instid1(VALU_DEP_1)
	v_sub_nc_u64_e32 v[118:119], v[42:43], v[44:45]
	v_cmpx_lt_i64_e32 0, v[118:119]
	s_cbranch_execz .LBB2_79
; %bb.76:                               ;   in Loop: Header=BB2_53 Depth=1
	v_add_nc_u64_e32 v[44:45], v[64:65], v[112:113]
	v_add_nc_u32_e32 v41, v60, v34
	s_mov_b32 s25, 0
	s_delay_alu instid0(VALU_DEP_1) | instskip(NEXT) | instid1(VALU_DEP_3)
	v_and_b32_e32 v41, 0xffffffe0, v41
	v_add_nc_u64_e32 v[44:45], v[44:45], v[114:115]
	s_delay_alu instid0(VALU_DEP_2) | instskip(NEXT) | instid1(VALU_DEP_2)
	v_sub_nc_u32_e32 v41, v60, v41
	v_add_nc_u64_e32 v[46:47], v[44:45], v[8:9]
	v_add_nc_u64_e32 v[62:63], v[44:45], v[6:7]
	s_delay_alu instid0(VALU_DEP_3) | instskip(NEXT) | instid1(VALU_DEP_1)
	v_lshl_add_u32 v40, v40, 8, v41
	v_ashrrev_i32_e32 v41, 31, v40
	s_delay_alu instid0(VALU_DEP_4) | instskip(NEXT) | instid1(VALU_DEP_4)
	v_add_nc_u64_e32 v[44:45], v[46:47], v[100:101]
	v_add_nc_u64_e32 v[46:47], v[62:63], v[102:103]
.LBB2_77:                               ;   Parent Loop BB2_53 Depth=1
                                        ; =>  This Inner Loop Header: Depth=2
	s_delay_alu instid0(VALU_DEP_2)
	v_add_nc_u64_e32 v[62:63], v[40:41], v[44:45]
	v_sub_nc_u64_e32 v[118:119], v[118:119], v[36:37]
	v_add_nc_u64_e32 v[44:45], v[44:45], v[54:55]
	s_clause 0x7
	flat_load_u8 v61, v[62:63] th:TH_LOAD_NT
	flat_load_u8 v72, v[62:63] offset:32 th:TH_LOAD_NT
	flat_load_u8 v73, v[62:63] offset:64 th:TH_LOAD_NT
	;; [unrolled: 1-line block ×7, first 2 shown]
	v_cmp_gt_i64_e32 vcc_lo, 1, v[118:119]
	s_wait_xcnt 0x0
	v_add_nc_u64_e32 v[62:63], v[40:41], v[46:47]
	v_add_nc_u64_e32 v[46:47], v[46:47], v[54:55]
	s_wait_loadcnt_dscnt 0x707
	flat_store_b8 v[62:63], v61 th:TH_STORE_NT
	s_wait_loadcnt_dscnt 0x607
	flat_store_b8 v[62:63], v72 offset:32 th:TH_STORE_NT
	s_wait_loadcnt_dscnt 0x507
	flat_store_b8 v[62:63], v73 offset:64 th:TH_STORE_NT
	;; [unrolled: 2-line block ×7, first 2 shown]
	s_or_b32 s25, vcc_lo, s25
	s_wait_xcnt 0x0
	s_and_not1_b32 exec_lo, exec_lo, s25
	s_cbranch_execnz .LBB2_77
; %bb.78:                               ;   in Loop: Header=BB2_53 Depth=1
	s_or_b32 exec_lo, exec_lo, s25
.LBB2_79:                               ;   in Loop: Header=BB2_53 Depth=1
	s_delay_alu instid0(SALU_CYCLE_1) | instskip(SKIP_1) | instid1(VALU_DEP_1)
	s_or_b32 exec_lo, exec_lo, s24
	v_lshlrev_b64_e32 v[40:41], 8, v[42:43]
	v_cmp_ne_u64_e32 vcc_lo, v[116:117], v[40:41]
	s_and_b32 exec_lo, exec_lo, vcc_lo
	s_cbranch_execz .LBB2_83
; %bb.80:                               ;   in Loop: Header=BB2_53 Depth=1
	v_add_nc_u32_e32 v34, v60, v34
	v_lshlrev_b32_e32 v118, 5, v118
	s_delay_alu instid0(VALU_DEP_2) | instskip(NEXT) | instid1(VALU_DEP_1)
	v_and_b32_e32 v34, 0xffffffe0, v34
	v_sub_nc_u32_e32 v34, v60, v34
	s_delay_alu instid0(VALU_DEP_1) | instskip(NEXT) | instid1(VALU_DEP_1)
	v_sub_nc_u32_e32 v118, v34, v118
	v_ashrrev_i32_e32 v119, 31, v118
	s_delay_alu instid0(VALU_DEP_1) | instskip(NEXT) | instid1(VALU_DEP_1)
	v_add_nc_u64_e32 v[42:43], v[40:41], v[118:119]
	v_sub_nc_u64_e32 v[116:117], v[116:117], v[42:43]
	s_delay_alu instid0(VALU_DEP_1)
	v_cmp_lt_i64_e32 vcc_lo, 0, v[116:117]
	s_and_b32 exec_lo, exec_lo, vcc_lo
	s_cbranch_execz .LBB2_83
; %bb.81:                               ;   in Loop: Header=BB2_53 Depth=1
	v_add_nc_u64_e32 v[112:113], v[64:65], v[112:113]
	v_add_nc_u64_e32 v[8:9], v[8:9], v[100:101]
	;; [unrolled: 1-line block ×3, first 2 shown]
	s_mov_b32 s24, 0
	s_delay_alu instid0(VALU_DEP_3) | instskip(NEXT) | instid1(VALU_DEP_1)
	v_add_nc_u64_e32 v[112:113], v[112:113], v[114:115]
	v_add_nc_u64_e32 v[112:113], v[112:113], v[40:41]
	s_delay_alu instid0(VALU_DEP_1)
	v_add_nc_u64_e32 v[100:101], v[112:113], v[118:119]
.LBB2_82:                               ;   Parent Loop BB2_53 Depth=1
                                        ; =>  This Inner Loop Header: Depth=2
	s_delay_alu instid0(VALU_DEP_1)
	v_add_nc_u64_e32 v[102:103], v[8:9], v[100:101]
	v_sub_nc_u64_e32 v[116:117], v[116:117], v[38:39]
	flat_load_u8 v34, v[102:103] th:TH_LOAD_NT
	v_cmp_gt_i64_e32 vcc_lo, 1, v[116:117]
	s_wait_xcnt 0x0
	v_add_nc_u64_e32 v[102:103], v[6:7], v[100:101]
	v_add_nc_u64_e32 v[100:101], v[100:101], v[38:39]
	s_or_b32 s24, vcc_lo, s24
	s_wait_loadcnt_dscnt 0x0
	flat_store_b8 v[102:103], v34 th:TH_STORE_NT
	s_wait_xcnt 0x0
	s_and_not1_b32 exec_lo, exec_lo, s24
	s_cbranch_execnz .LBB2_82
.LBB2_83:                               ;   in Loop: Header=BB2_53 Depth=1
	s_or_b32 exec_lo, exec_lo, s12
	s_delay_alu instid0(SALU_CYCLE_1)
	s_xor_b32 s24, exec_lo, -1
.LBB2_84:                               ;   in Loop: Header=BB2_53 Depth=1
	s_or_b32 exec_lo, exec_lo, s10
	s_and_saveexec_b32 s12, s24
	s_cbranch_execz .LBB2_613
.LBB2_85:                               ;   in Loop: Header=BB2_53 Depth=1
	s_mov_b32 s24, exec_lo
	v_cmpx_lt_i64_e32 0, v[86:87]
	s_cbranch_execz .LBB2_612
; %bb.86:                               ;   in Loop: Header=BB2_53 Depth=1
	v_mov_b64_e32 v[6:7], 0
	s_cmp_gt_u32 s23, 1
	s_mov_b32 s25, 0
	s_cselect_b32 s26, -1, 0
	s_branch .LBB2_89
.LBB2_87:                               ;   in Loop: Header=BB2_89 Depth=2
	s_or_b32 exec_lo, exec_lo, s28
.LBB2_88:                               ;   in Loop: Header=BB2_89 Depth=2
	s_delay_alu instid0(SALU_CYCLE_1) | instskip(SKIP_1) | instid1(VALU_DEP_1)
	s_or_b32 exec_lo, exec_lo, s27
	v_add_nc_u64_e32 v[6:7], v[6:7], v[32:33]
	v_cmp_ge_i64_e32 vcc_lo, v[6:7], v[86:87]
	s_or_b32 s25, vcc_lo, s25
	s_delay_alu instid0(SALU_CYCLE_1)
	s_and_not1_b32 exec_lo, exec_lo, s25
	s_cbranch_execz .LBB2_611
.LBB2_89:                               ;   Parent Loop BB2_53 Depth=1
                                        ; =>  This Loop Header: Depth=2
                                        ;       Child Loop BB2_93 Depth 3
                                        ;         Child Loop BB2_101 Depth 4
                                        ;         Child Loop BB2_125 Depth 4
	;; [unrolled: 1-line block ×8, first 2 shown]
                                        ;       Child Loop BB2_214 Depth 3
                                        ;         Child Loop BB2_220 Depth 4
                                        ;         Child Loop BB2_244 Depth 4
                                        ;       Child Loop BB2_265 Depth 3
                                        ;         Child Loop BB2_268 Depth 4
                                        ;           Child Loop BB2_276 Depth 5
                                        ;           Child Loop BB2_304 Depth 5
	;; [unrolled: 1-line block ×8, first 2 shown]
                                        ;         Child Loop BB2_393 Depth 4
                                        ;           Child Loop BB2_399 Depth 5
                                        ;           Child Loop BB2_427 Depth 5
                                        ;       Child Loop BB2_447 Depth 3
                                        ;         Child Loop BB2_455 Depth 4
                                        ;         Child Loop BB2_479 Depth 4
                                        ;         Child Loop BB2_498 Depth 4
                                        ;         Child Loop BB2_520 Depth 4
                                        ;         Child Loop BB2_525 Depth 4
                                        ;         Child Loop BB2_533 Depth 4
                                        ;         Child Loop BB2_538 Depth 4
                                        ;         Child Loop BB2_547 Depth 4
                                        ;       Child Loop BB2_566 Depth 3
                                        ;         Child Loop BB2_572 Depth 4
                                        ;         Child Loop BB2_596 Depth 4
	s_delay_alu instid0(VALU_DEP_1) | instskip(SKIP_1) | instid1(VALU_DEP_2)
	v_sub_nc_u64_e32 v[8:9], v[86:87], v[6:7]
	v_mov_b32_e32 v102, 0
	v_min_i64 v[8:9], v[32:33], v[8:9]
	s_delay_alu instid0(VALU_DEP_1) | instskip(NEXT) | instid1(VALU_DEP_2)
	v_add_nc_u32_e32 v34, 31, v8
	v_cmp_ne_u64_e32 vcc_lo, 0, v[8:9]
	s_delay_alu instid0(VALU_DEP_2) | instskip(SKIP_1) | instid1(VALU_DEP_1)
	v_dual_mov_b32 v9, 0 :: v_dual_lshrrev_b32 v34, 1, v34
	s_and_b32 s27, s11, vcc_lo
	v_and_b32_e32 v34, 0x3ffffff0, v34
	s_delay_alu instid0(VALU_DEP_1)
	v_max_i32_e32 v100, s21, v34
	s_and_saveexec_b32 s28, s27
	s_cbranch_execz .LBB2_210
; %bb.90:                               ;   in Loop: Header=BB2_89 Depth=2
	v_mov_b32_e32 v102, 0
	s_mov_b32 s41, 1
	s_mov_b32 s40, -1
	s_mov_b32 s29, 0
	s_branch .LBB2_93
.LBB2_91:                               ;   in Loop: Header=BB2_93 Depth=3
	s_wait_xcnt 0x0
	s_or_b32 exec_lo, exec_lo, s42
	v_add_nc_u64_e32 v[84:85], 2, v[84:85]
	global_wb scope:SCOPE_SYS
	s_wait_storecnt 0x0
	s_wait_loadcnt_dscnt 0x0
	flat_store_b64 v[18:19], v[84:85] scope:SCOPE_SYS
.LBB2_92:                               ;   in Loop: Header=BB2_93 Depth=3
	s_wait_xcnt 0x0
	s_or_b32 exec_lo, exec_lo, s10
	v_dual_mov_b32 v9, s41 :: v_dual_add_nc_u32 v102, v100, v102
	s_xor_b32 s10, s40, -1
	s_mov_b32 s40, 0
	s_mov_b32 s41, 2
	s_delay_alu instid0(VALU_DEP_1) | instskip(SKIP_1) | instid1(SALU_CYCLE_1)
	v_cmp_ge_i32_e32 vcc_lo, v102, v8
	s_or_b32 s10, s10, vcc_lo
	s_and_b32 s10, exec_lo, s10
	s_delay_alu instid0(SALU_CYCLE_1) | instskip(NEXT) | instid1(SALU_CYCLE_1)
	s_or_b32 s29, s10, s29
	s_and_not1_b32 exec_lo, exec_lo, s29
	s_cbranch_execz .LBB2_209
.LBB2_93:                               ;   Parent Loop BB2_53 Depth=1
                                        ;     Parent Loop BB2_89 Depth=2
                                        ; =>    This Loop Header: Depth=3
                                        ;         Child Loop BB2_101 Depth 4
                                        ;         Child Loop BB2_125 Depth 4
	;; [unrolled: 1-line block ×8, first 2 shown]
	s_and_saveexec_b32 s10, s0
	s_cbranch_execz .LBB2_95
; %bb.94:                               ;   in Loop: Header=BB2_93 Depth=3
	s_trap 2
	ds_load_b64 v[112:113], v0
	v_ashrrev_i32_e32 v103, 31, v102
	s_wait_dscnt 0x0
	v_add_nc_u64_e32 v[112:113], v[112:113], v[96:97]
	s_delay_alu instid0(VALU_DEP_1) | instskip(NEXT) | instid1(VALU_DEP_1)
	v_add_nc_u64_e32 v[112:113], v[112:113], v[6:7]
	v_add_nc_u64_e32 v[112:113], v[112:113], v[102:103]
	ds_store_b64 v0, v[112:113]
	ds_store_b64 v0, v[48:49]
.LBB2_95:                               ;   in Loop: Header=BB2_93 Depth=3
	s_or_b32 exec_lo, exec_lo, s10
	v_sub_nc_u32_e32 v9, v8, v102
	v_and_b32_e32 v34, 8, v82
	s_mov_b32 s42, exec_lo
	s_delay_alu instid0(VALU_DEP_2) | instskip(NEXT) | instid1(VALU_DEP_2)
	v_min_i32_e32 v100, v100, v9
	v_cmpx_ne_u32_e32 0, v34
	s_cbranch_execz .LBB2_117
; %bb.96:                               ;   in Loop: Header=BB2_93 Depth=3
	s_wait_loadcnt 0x0
	v_add_nc_u64_e32 v[114:115], 8, v[26:27]
	v_add_nc_u64_e32 v[112:113], 2, v[84:85]
	s_mov_b32 s43, exec_lo
	s_delay_alu instid0(VALU_DEP_1)
	v_cmpx_lt_u64_e64 v[114:115], v[112:113]
	s_cbranch_execz .LBB2_108
; %bb.97:                               ;   in Loop: Header=BB2_93 Depth=3
	v_and_b32_e32 v9, 64, v82
	s_mov_b32 s44, 0
	s_mov_b32 s56, 0
                                        ; implicit-def: $sgpr45
                                        ; implicit-def: $sgpr46
                                        ; implicit-def: $sgpr47
	s_delay_alu instid0(VALU_DEP_1)
	v_cmp_eq_u32_e32 vcc_lo, 0, v9
	s_branch .LBB2_101
.LBB2_98:                               ;   in Loop: Header=BB2_101 Depth=4
	s_wait_loadcnt_dscnt 0x0
	v_add_nc_u64_e32 v[114:115], 8, v[26:27]
	s_or_b32 s59, s59, exec_lo
	s_delay_alu instid0(VALU_DEP_1)
	v_cmp_ge_u64_e64 s10, v[114:115], v[112:113]
	s_or_not1_b32 s58, s10, exec_lo
.LBB2_99:                               ;   in Loop: Header=BB2_101 Depth=4
	s_or_b32 exec_lo, exec_lo, s61
	s_delay_alu instid0(SALU_CYCLE_1)
	s_and_not1_b32 s10, s47, exec_lo
	s_and_b32 s47, s59, exec_lo
	s_and_not1_b32 s46, s46, exec_lo
	s_and_b32 s58, s58, exec_lo
	s_or_b32 s47, s10, s47
	s_or_b32 s46, s46, s58
.LBB2_100:                              ;   in Loop: Header=BB2_101 Depth=4
	s_or_b32 exec_lo, exec_lo, s57
	s_delay_alu instid0(SALU_CYCLE_1) | instskip(NEXT) | instid1(SALU_CYCLE_1)
	s_and_b32 s10, exec_lo, s46
	s_or_b32 s44, s10, s44
	s_and_not1_b32 s10, s45, exec_lo
	s_and_b32 s45, s47, exec_lo
	s_delay_alu instid0(SALU_CYCLE_1)
	s_or_b32 s45, s10, s45
	s_and_not1_b32 exec_lo, exec_lo, s44
	s_cbranch_execz .LBB2_105
.LBB2_101:                              ;   Parent Loop BB2_53 Depth=1
                                        ;     Parent Loop BB2_89 Depth=2
                                        ;       Parent Loop BB2_93 Depth=3
                                        ; =>      This Inner Loop Header: Depth=4
	s_sleep 1
	s_wait_loadcnt_dscnt 0x0
	flat_load_b64 v[26:27], v[18:19] scope:SCOPE_SYS
	s_or_b32 s47, s47, exec_lo
	s_or_b32 s46, s46, exec_lo
                                        ; implicit-def: $vgpr9
	s_wait_xcnt 0x0
	s_and_saveexec_b32 s57, vcc_lo
	s_cbranch_execz .LBB2_100
; %bb.102:                              ;   in Loop: Header=BB2_101 Depth=4
	s_cmp_lt_i32 s56, 0x270f
	s_mov_b32 s58, -1
	s_cselect_b32 s60, -1, 0
	s_cmp_gt_i32 s56, 0x270e
	s_cbranch_scc0 .LBB2_104
; %bb.103:                              ;   in Loop: Header=BB2_101 Depth=4
	s_trap 2
	ds_load_b64 v[114:115], v0
	s_and_not1_b32 s56, s60, exec_lo
	s_mov_b32 s59, 0
	s_wait_storecnt 0x0
	s_wait_loadcnt_dscnt 0x0
	flat_load_b32 v9, v[114:115] scope:SCOPE_SYS
	s_wait_loadcnt_dscnt 0x0
	global_inv scope:SCOPE_SYS
	v_cmp_eq_u32_e64 s10, 0, v9
	s_and_b32 s10, s10, exec_lo
	s_delay_alu instid0(SALU_CYCLE_1)
	s_or_b32 s60, s56, s10
	s_mov_b32 s56, 0
	s_and_saveexec_b32 s61, s60
	s_cbranch_execz .LBB2_99
	s_branch .LBB2_98
.LBB2_104:                              ;   in Loop: Header=BB2_101 Depth=4
	s_add_co_i32 s56, s56, 1
	s_mov_b32 s59, -1
                                        ; implicit-def: $vgpr9
	s_and_saveexec_b32 s61, s60
	s_cbranch_execz .LBB2_99
	s_branch .LBB2_98
.LBB2_105:                              ;   in Loop: Header=BB2_93 Depth=3
	s_or_b32 exec_lo, exec_lo, s44
	s_xor_b32 s10, s45, -1
	s_delay_alu instid0(SALU_CYCLE_1) | instskip(NEXT) | instid1(SALU_CYCLE_1)
	s_and_saveexec_b32 s44, s10
	s_xor_b32 s10, exec_lo, s44
	s_cbranch_execz .LBB2_107
; %bb.106:                              ;   in Loop: Header=BB2_93 Depth=3
	v_or_b32_e32 v82, 64, v82
	s_wait_storecnt 0x0
	s_wait_loadcnt_dscnt 0x0
	ds_store_b32 v0, v9
	s_trap 2
.LBB2_107:                              ;   in Loop: Header=BB2_93 Depth=3
	s_or_b32 exec_lo, exec_lo, s10
.LBB2_108:                              ;   in Loop: Header=BB2_93 Depth=3
	s_delay_alu instid0(SALU_CYCLE_1)
	s_or_b32 exec_lo, exec_lo, s43
	v_and_b32_e32 v9, 0x100, v82
	v_and_b32_e32 v34, 7, v84
	s_mov_b32 s10, -1
	s_mov_b32 s43, exec_lo
	;;#ASMSTART
	s_wakeup
	;;#ASMEND
                                        ; implicit-def: $vgpr84_vgpr85
	v_cmpx_ne_u32_e32 0, v9
	s_cbranch_execz .LBB2_112
; %bb.109:                              ;   in Loop: Header=BB2_93 Depth=3
	v_mad_nc_u64_u32 v[114:115], v34, 24, v[4:5]
	v_ashrrev_i32_e32 v101, 31, v100
	s_mov_b32 s44, exec_lo
                                        ; implicit-def: $vgpr84_vgpr85
	s_clause 0x1
	flat_load_b32 v9, v[114:115]
	flat_store_b64 v[114:115], v[100:101] offset:8
	s_wait_loadcnt_dscnt 0x1
	v_cmp_ne_u32_e32 vcc_lo, 1, v9
	s_wait_xcnt 0x0
	v_cmpx_eq_u32_e32 1, v9
	s_cbranch_execz .LBB2_111
; %bb.110:                              ;   in Loop: Header=BB2_93 Depth=3
	flat_load_b32 v84, v[114:115] offset:4 scope:SCOPE_SYS
	s_wait_loadcnt_dscnt 0x0
	v_ashrrev_i32_e32 v85, 31, v84
.LBB2_111:                              ;   in Loop: Header=BB2_93 Depth=3
	s_wait_xcnt 0x0
	s_or_b32 exec_lo, exec_lo, s44
	s_delay_alu instid0(SALU_CYCLE_1)
	s_or_not1_b32 s10, vcc_lo, exec_lo
.LBB2_112:                              ;   in Loop: Header=BB2_93 Depth=3
	s_or_b32 exec_lo, exec_lo, s43
	s_and_saveexec_b32 s43, s10
; %bb.113:                              ;   in Loop: Header=BB2_93 Depth=3
	v_mul_u64_e32 v[84:85], v[34:35], v[20:21]
; %bb.114:                              ;   in Loop: Header=BB2_93 Depth=3
	s_or_b32 exec_lo, exec_lo, s43
	s_delay_alu instid0(VALU_DEP_1)
	v_add_nc_u64_e32 v[84:85], v[22:23], v[84:85]
	v_and_b32_e32 v9, 0x2000, v82
	s_mov_b32 s10, exec_lo
	ds_store_b64 v0, v[84:85] offset:784
	v_cmpx_ne_u32_e32 0, v9
	s_cbranch_execz .LBB2_116
; %bb.115:                              ;   in Loop: Header=BB2_93 Depth=3
	ds_load_b64 v[84:85], v0 offset:872
	s_wait_dscnt 0x0
	v_add_nc_u64_e32 v[84:85], 1, v[84:85]
	ds_store_b64 v0, v[84:85] offset:872
.LBB2_116:                              ;   in Loop: Header=BB2_93 Depth=3
	s_or_b32 exec_lo, exec_lo, s10
	v_mov_b64_e32 v[84:85], v[112:113]
.LBB2_117:                              ;   in Loop: Header=BB2_93 Depth=3
	s_or_b32 exec_lo, exec_lo, s42
	s_and_saveexec_b32 s10, s1
	s_cbranch_execz .LBB2_136
; %bb.118:                              ;   in Loop: Header=BB2_93 Depth=3
	s_and_saveexec_b32 s42, s2
	s_delay_alu instid0(SALU_CYCLE_1)
	s_xor_b32 s42, exec_lo, s42
	s_cbranch_execz .LBB2_133
; %bb.119:                              ;   in Loop: Header=BB2_93 Depth=3
	s_and_saveexec_b32 s43, s5
	s_cbranch_execz .LBB2_132
; %bb.120:                              ;   in Loop: Header=BB2_93 Depth=3
	s_mov_b32 s45, exec_lo
	s_mov_b32 s44, exec_lo
	v_mbcnt_lo_u32_b32 v9, s45, 0
	global_wb scope:SCOPE_DEV
	s_wait_storecnt 0x0
	s_wait_loadcnt_dscnt 0x0
	global_inv scope:SCOPE_DEV
	v_cmpx_eq_u32_e32 0, v9
	s_cbranch_execz .LBB2_122
; %bb.121:                              ;   in Loop: Header=BB2_93 Depth=3
	s_bcnt1_i32_b32 s45, s45
	s_delay_alu instid0(SALU_CYCLE_1)
	v_mov_b32_e32 v34, s45
	s_wait_loadcnt 0x0
	ds_add_u64 v0, v[34:35]
	s_trap 2
.LBB2_122:                              ;   in Loop: Header=BB2_93 Depth=3
	s_or_b32 exec_lo, exec_lo, s44
	s_trap 2
	ds_load_b64 v[112:113], v0
	s_wait_dscnt 0x0
	v_add_nc_u64_e32 v[10:11], v[10:11], v[36:37]
	s_mov_b32 s44, exec_lo
	s_delay_alu instid0(VALU_DEP_1)
	v_cmpx_lt_u64_e64 v[112:113], v[10:11]
	s_cbranch_execz .LBB2_131
; %bb.123:                              ;   in Loop: Header=BB2_93 Depth=3
	s_mov_b32 s45, 0
	s_mov_b32 s56, 0
                                        ; implicit-def: $sgpr46
                                        ; implicit-def: $sgpr47
	s_branch .LBB2_125
.LBB2_124:                              ;   in Loop: Header=BB2_125 Depth=4
	s_or_b32 exec_lo, exec_lo, s58
	s_delay_alu instid0(SALU_CYCLE_1) | instskip(NEXT) | instid1(SALU_CYCLE_1)
	s_and_b32 s57, exec_lo, s59
	s_or_b32 s45, s57, s45
	s_and_not1_b32 s46, s46, exec_lo
	s_and_b32 s57, s47, exec_lo
	s_delay_alu instid0(SALU_CYCLE_1)
	s_or_b32 s46, s46, s57
	s_and_not1_b32 exec_lo, exec_lo, s45
	s_cbranch_execz .LBB2_129
.LBB2_125:                              ;   Parent Loop BB2_53 Depth=1
                                        ;     Parent Loop BB2_89 Depth=2
                                        ;       Parent Loop BB2_93 Depth=3
                                        ; =>      This Inner Loop Header: Depth=4
	s_add_co_i32 s56, s56, 1
	s_delay_alu instid0(SALU_CYCLE_1) | instskip(SKIP_1) | instid1(SALU_CYCLE_1)
	s_cmp_lg_u32 s56, 0x2710
	s_cselect_b32 s57, -1, 0
	s_and_b32 vcc_lo, exec_lo, s57
	s_cbranch_vccz .LBB2_127
; %bb.126:                              ;   in Loop: Header=BB2_125 Depth=4
	s_mov_b32 s59, -1
	s_or_b32 s47, s47, exec_lo
	s_and_saveexec_b32 s58, s57
	s_cbranch_execz .LBB2_124
	s_branch .LBB2_128
.LBB2_127:                              ;   in Loop: Header=BB2_125 Depth=4
	s_trap 2
	ds_load_b64 v[112:113], v0
	s_and_not1_b32 s57, s57, exec_lo
	s_mov_b32 s56, 0
	s_wait_loadcnt_dscnt 0x0
	flat_load_b32 v9, v[112:113] scope:SCOPE_SYS
	s_wait_loadcnt_dscnt 0x0
	global_inv scope:SCOPE_SYS
	v_cmp_eq_u32_e32 vcc_lo, 0, v9
	s_and_b32 s58, vcc_lo, exec_lo
	s_delay_alu instid0(SALU_CYCLE_1)
	s_or_b32 s57, s57, s58
	s_mov_b32 s59, -1
	s_or_b32 s47, s47, exec_lo
	s_and_saveexec_b32 s58, s57
	s_cbranch_execz .LBB2_124
.LBB2_128:                              ;   in Loop: Header=BB2_125 Depth=4
	s_sleep 1
	s_trap 2
	ds_load_b64 v[112:113], v0
	s_wait_dscnt 0x0
	s_and_not1_b32 s47, s47, exec_lo
	v_cmp_ge_u64_e32 vcc_lo, v[112:113], v[10:11]
	s_or_not1_b32 s59, vcc_lo, exec_lo
	s_branch .LBB2_124
.LBB2_129:                              ;   in Loop: Header=BB2_93 Depth=3
	s_or_b32 exec_lo, exec_lo, s45
	s_and_saveexec_b32 s45, s46
	s_delay_alu instid0(SALU_CYCLE_1)
	s_xor_b32 s45, exec_lo, s45
	s_cbranch_execz .LBB2_131
; %bb.130:                              ;   in Loop: Header=BB2_93 Depth=3
	ds_store_b32 v0, v57
	s_trap 2
.LBB2_131:                              ;   in Loop: Header=BB2_93 Depth=3
	s_or_b32 exec_lo, exec_lo, s44
	;;#ASMSTART
	s_wakeup
	;;#ASMEND
.LBB2_132:                              ;   in Loop: Header=BB2_93 Depth=3
	s_or_b32 exec_lo, exec_lo, s43
.LBB2_133:                              ;   in Loop: Header=BB2_93 Depth=3
	s_and_not1_saveexec_b32 s42, s42
	s_cbranch_execz .LBB2_135
; %bb.134:                              ;   in Loop: Header=BB2_93 Depth=3
	global_wb scope:SCOPE_DEV
	s_wait_storecnt 0x0
	s_wait_loadcnt_dscnt 0x0
	global_inv scope:SCOPE_DEV
	s_barrier_signal -1
	s_barrier_wait -1
.LBB2_135:                              ;   in Loop: Header=BB2_93 Depth=3
	s_or_b32 exec_lo, exec_lo, s42
.LBB2_136:                              ;   in Loop: Header=BB2_93 Depth=3
	s_delay_alu instid0(SALU_CYCLE_1) | instskip(SKIP_3) | instid1(VALU_DEP_1)
	s_or_b32 exec_lo, exec_lo, s10
	s_trap 2
	ds_load_b32 v9, v0
	v_and_b32_e32 v34, 0x4000, v82
	v_cmp_ne_u32_e32 vcc_lo, 0, v34
	s_and_b32 s42, s22, vcc_lo
	s_delay_alu instid0(SALU_CYCLE_1)
	s_and_saveexec_b32 s10, s42
	s_cbranch_execz .LBB2_155
; %bb.137:                              ;   in Loop: Header=BB2_93 Depth=3
	s_and_saveexec_b32 s42, s2
	s_delay_alu instid0(SALU_CYCLE_1)
	s_xor_b32 s42, exec_lo, s42
	s_cbranch_execz .LBB2_152
; %bb.138:                              ;   in Loop: Header=BB2_93 Depth=3
	s_and_saveexec_b32 s43, s5
	s_cbranch_execz .LBB2_151
; %bb.139:                              ;   in Loop: Header=BB2_93 Depth=3
	s_mov_b32 s45, exec_lo
	s_mov_b32 s44, exec_lo
	v_mbcnt_lo_u32_b32 v34, s45, 0
	global_wb scope:SCOPE_DEV
	s_wait_storecnt 0x0
	s_wait_loadcnt_dscnt 0x0
	global_inv scope:SCOPE_DEV
	v_cmpx_eq_u32_e32 0, v34
	s_cbranch_execz .LBB2_141
; %bb.140:                              ;   in Loop: Header=BB2_93 Depth=3
	s_bcnt1_i32_b32 s45, s45
	s_delay_alu instid0(SALU_CYCLE_1)
	v_mov_b32_e32 v34, s45
	s_wait_loadcnt 0x0
	ds_add_u64 v0, v[34:35]
	s_trap 2
.LBB2_141:                              ;   in Loop: Header=BB2_93 Depth=3
	s_or_b32 exec_lo, exec_lo, s44
	s_trap 2
	ds_load_b64 v[112:113], v0
	s_wait_dscnt 0x0
	v_add_nc_u64_e32 v[10:11], v[10:11], v[36:37]
	s_mov_b32 s44, exec_lo
	s_delay_alu instid0(VALU_DEP_1)
	v_cmpx_lt_u64_e64 v[112:113], v[10:11]
	s_cbranch_execz .LBB2_150
; %bb.142:                              ;   in Loop: Header=BB2_93 Depth=3
	s_mov_b32 s45, 0
	s_mov_b32 s56, 0
                                        ; implicit-def: $sgpr46
                                        ; implicit-def: $sgpr47
	s_branch .LBB2_144
.LBB2_143:                              ;   in Loop: Header=BB2_144 Depth=4
	s_or_b32 exec_lo, exec_lo, s58
	s_delay_alu instid0(SALU_CYCLE_1) | instskip(NEXT) | instid1(SALU_CYCLE_1)
	s_and_b32 s57, exec_lo, s59
	s_or_b32 s45, s57, s45
	s_and_not1_b32 s46, s46, exec_lo
	s_and_b32 s57, s47, exec_lo
	s_delay_alu instid0(SALU_CYCLE_1)
	s_or_b32 s46, s46, s57
	s_and_not1_b32 exec_lo, exec_lo, s45
	s_cbranch_execz .LBB2_148
.LBB2_144:                              ;   Parent Loop BB2_53 Depth=1
                                        ;     Parent Loop BB2_89 Depth=2
                                        ;       Parent Loop BB2_93 Depth=3
                                        ; =>      This Inner Loop Header: Depth=4
	s_add_co_i32 s56, s56, 1
	s_delay_alu instid0(SALU_CYCLE_1) | instskip(SKIP_1) | instid1(SALU_CYCLE_1)
	s_cmp_lg_u32 s56, 0x2710
	s_cselect_b32 s57, -1, 0
	s_and_b32 vcc_lo, exec_lo, s57
	s_cbranch_vccz .LBB2_146
; %bb.145:                              ;   in Loop: Header=BB2_144 Depth=4
	s_mov_b32 s59, -1
	s_or_b32 s47, s47, exec_lo
	s_and_saveexec_b32 s58, s57
	s_cbranch_execz .LBB2_143
	s_branch .LBB2_147
.LBB2_146:                              ;   in Loop: Header=BB2_144 Depth=4
	s_trap 2
	ds_load_b64 v[112:113], v0
	s_and_not1_b32 s57, s57, exec_lo
	s_mov_b32 s56, 0
	s_wait_loadcnt_dscnt 0x0
	flat_load_b32 v34, v[112:113] scope:SCOPE_SYS
	s_wait_loadcnt_dscnt 0x0
	global_inv scope:SCOPE_SYS
	v_cmp_eq_u32_e32 vcc_lo, 0, v34
	s_and_b32 s58, vcc_lo, exec_lo
	s_delay_alu instid0(SALU_CYCLE_1)
	s_or_b32 s57, s57, s58
	s_mov_b32 s59, -1
	s_or_b32 s47, s47, exec_lo
	s_and_saveexec_b32 s58, s57
	s_cbranch_execz .LBB2_143
.LBB2_147:                              ;   in Loop: Header=BB2_144 Depth=4
	s_sleep 1
	s_trap 2
	ds_load_b64 v[112:113], v0
	s_wait_dscnt 0x0
	s_and_not1_b32 s47, s47, exec_lo
	v_cmp_ge_u64_e32 vcc_lo, v[112:113], v[10:11]
	s_or_not1_b32 s59, vcc_lo, exec_lo
	s_branch .LBB2_143
.LBB2_148:                              ;   in Loop: Header=BB2_93 Depth=3
	s_or_b32 exec_lo, exec_lo, s45
	s_and_saveexec_b32 s45, s46
	s_delay_alu instid0(SALU_CYCLE_1)
	s_xor_b32 s45, exec_lo, s45
	s_cbranch_execz .LBB2_150
; %bb.149:                              ;   in Loop: Header=BB2_93 Depth=3
	ds_store_b32 v0, v57
	s_trap 2
.LBB2_150:                              ;   in Loop: Header=BB2_93 Depth=3
	s_or_b32 exec_lo, exec_lo, s44
	;;#ASMSTART
	s_wakeup
	;;#ASMEND
.LBB2_151:                              ;   in Loop: Header=BB2_93 Depth=3
	s_or_b32 exec_lo, exec_lo, s43
.LBB2_152:                              ;   in Loop: Header=BB2_93 Depth=3
	s_and_not1_saveexec_b32 s42, s42
	s_cbranch_execz .LBB2_154
; %bb.153:                              ;   in Loop: Header=BB2_93 Depth=3
	global_wb scope:SCOPE_DEV
	s_wait_storecnt 0x0
	s_wait_loadcnt_dscnt 0x0
	global_inv scope:SCOPE_DEV
	s_barrier_signal -1
	s_barrier_wait -1
.LBB2_154:                              ;   in Loop: Header=BB2_93 Depth=3
	s_or_b32 exec_lo, exec_lo, s42
.LBB2_155:                              ;   in Loop: Header=BB2_93 Depth=3
	s_delay_alu instid0(SALU_CYCLE_1)
	s_or_b32 exec_lo, exec_lo, s10
	s_trap 2
	ds_load_b64 v[112:113], v0
	s_wait_dscnt 0x0
	v_cmp_eq_u64_e32 vcc_lo, 0, v[112:113]
	s_cbranch_vccnz .LBB2_163
; %bb.156:                              ;   in Loop: Header=BB2_93 Depth=3
	s_trap 2
	ds_load_b64 v[114:115], v0
	s_wait_dscnt 0x0
	v_cmp_eq_u64_e32 vcc_lo, 0, v[114:115]
	s_cbranch_vccnz .LBB2_163
; %bb.157:                              ;   in Loop: Header=BB2_93 Depth=3
	s_mov_b32 s10, -1
	s_and_saveexec_b32 s42, s6
	s_cbranch_execz .LBB2_159
; %bb.158:                              ;   in Loop: Header=BB2_93 Depth=3
	ds_load_b32 v34, v0 offset:720
	s_wait_dscnt 0x0
	v_and_b32_e32 v34, 15, v34
	s_delay_alu instid0(VALU_DEP_1)
	v_cmp_eq_u32_e32 vcc_lo, 0, v34
	s_or_not1_b32 s10, vcc_lo, exec_lo
.LBB2_159:                              ;   in Loop: Header=BB2_93 Depth=3
	s_or_b32 exec_lo, exec_lo, s42
	s_and_saveexec_b32 s42, s7
	s_cbranch_execz .LBB2_161
; %bb.160:                              ;   in Loop: Header=BB2_93 Depth=3
	ds_load_b32 v34, v0 offset:784
	s_wait_dscnt 0x0
	v_and_b32_e32 v34, 15, v34
	s_delay_alu instid0(VALU_DEP_1) | instskip(SKIP_3) | instid1(SALU_CYCLE_1)
	v_cmp_eq_u32_e32 vcc_lo, 0, v34
	s_and_b32 s43, s10, vcc_lo
	s_and_not1_b32 s10, s10, exec_lo
	s_and_b32 s43, s43, exec_lo
	s_or_b32 s10, s10, s43
.LBB2_161:                              ;   in Loop: Header=BB2_93 Depth=3
	s_or_b32 exec_lo, exec_lo, s42
	v_cmp_eq_u32_e32 vcc_lo, 0, v9
	s_xor_b32 s10, s10, -1
	v_mov_b32_e32 v116, v68
	v_cndmask_b32_e64 v34, 0, 1, s10
	s_mov_b32 s43, -1
	v_dual_cndmask_b32 v9, 0, v100, vcc_lo :: v_dual_mov_b32 v103, v0
	s_delay_alu instid0(VALU_DEP_2) | instskip(NEXT) | instid1(VALU_DEP_2)
	v_cmp_ne_u32_e32 vcc_lo, 0, v34
	v_dual_mov_b32 v34, 0 :: v_dual_mov_b32 v101, v9
	s_cbranch_vccz .LBB2_164
; %bb.162:                              ;   in Loop: Header=BB2_93 Depth=3
	s_and_saveexec_b32 s10, s43
	s_cbranch_execnz .LBB2_177
	s_branch .LBB2_185
.LBB2_163:                              ;   in Loop: Header=BB2_93 Depth=3
	s_mov_b32 s10, 0
	s_and_saveexec_b32 s42, s1
	s_cbranch_execnz .LBB2_186
	s_branch .LBB2_204
.LBB2_164:                              ;   in Loop: Header=BB2_93 Depth=3
	v_ashrrev_i32_e32 v34, 31, v9
	s_mov_b32 s10, exec_lo
	s_delay_alu instid0(VALU_DEP_1) | instskip(NEXT) | instid1(VALU_DEP_1)
	v_lshrrev_b32_e32 v34, 22, v34
	v_add_nc_u32_e32 v34, v9, v34
	s_delay_alu instid0(VALU_DEP_1) | instskip(NEXT) | instid1(VALU_DEP_1)
	v_ashrrev_i32_e32 v34, 10, v34
	v_sub_nc_u32_e32 v119, v34, v68
	s_delay_alu instid0(VALU_DEP_1)
	v_cmpx_lt_i32_e32 0, v119
	s_cbranch_execz .LBB2_168
; %bb.165:                              ;   in Loop: Header=BB2_93 Depth=3
	v_mov_b64_e32 v[116:117], v[70:71]
	s_mov_b32 s42, 0
.LBB2_166:                              ;   Parent Loop BB2_53 Depth=1
                                        ;     Parent Loop BB2_89 Depth=2
                                        ;       Parent Loop BB2_93 Depth=3
                                        ; =>      This Inner Loop Header: Depth=4
	s_delay_alu instid0(VALU_DEP_1)
	v_add_nc_u64_e32 v[44:45], v[112:113], v[116:117]
	v_sub_nc_u32_e32 v119, v119, v36
	v_add_nc_u64_e32 v[60:61], v[114:115], v[116:117]
	v_add_nc_u64_e32 v[116:117], v[116:117], v[50:51]
	s_clause 0x1
	global_load_b128 v[40:43], v[44:45], off th:TH_LOAD_NT
	global_load_b128 v[44:47], v[44:45], off offset:512 th:TH_LOAD_NT
	v_cmp_gt_i32_e32 vcc_lo, 1, v119
	s_wait_loadcnt 0x1
	global_store_b128 v[60:61], v[40:43], off th:TH_STORE_NT
	s_wait_loadcnt 0x0
	global_store_b128 v[60:61], v[44:47], off offset:512 th:TH_STORE_NT
	s_or_b32 s42, vcc_lo, s42
	s_wait_xcnt 0x0
	s_and_not1_b32 exec_lo, exec_lo, s42
	s_cbranch_execnz .LBB2_166
; %bb.167:                              ;   in Loop: Header=BB2_93 Depth=3
	s_or_b32 exec_lo, exec_lo, s42
.LBB2_168:                              ;   in Loop: Header=BB2_93 Depth=3
	s_delay_alu instid0(SALU_CYCLE_1) | instskip(SKIP_3) | instid1(VALU_DEP_1)
	s_or_b32 exec_lo, exec_lo, s10
	v_dual_lshlrev_b32 v118, 10, v34 :: v_dual_mov_b32 v34, 0
	s_mov_b32 s43, 0
	s_mov_b32 s42, exec_lo
                                        ; implicit-def: $vgpr101
                                        ; implicit-def: $vgpr103
                                        ; implicit-def: $vgpr116
	v_cmpx_ne_u32_e64 v9, v118
	s_cbranch_execz .LBB2_176
; %bb.169:                              ;   in Loop: Header=BB2_93 Depth=3
	v_dual_lshlrev_b32 v34, 5, v119 :: v_dual_sub_nc_u32 v103, v9, v118
	s_mov_b32 s43, exec_lo
	s_delay_alu instid0(VALU_DEP_1) | instskip(NEXT) | instid1(VALU_DEP_1)
	v_dual_sub_nc_u32 v34, v58, v34 :: v_dual_ashrrev_i32 v116, 31, v103
	v_dual_ashrrev_i32 v101, 31, v34 :: v_dual_lshrrev_b32 v116, 23, v116
	s_delay_alu instid0(VALU_DEP_1) | instskip(NEXT) | instid1(VALU_DEP_1)
	v_lshrrev_b32_e32 v101, 27, v101
	v_add_nc_u32_e32 v101, v34, v101
	s_delay_alu instid0(VALU_DEP_1) | instskip(NEXT) | instid1(VALU_DEP_1)
	v_and_b32_e32 v117, 0xffffffe0, v101
	v_dual_add_nc_u32 v116, v103, v116 :: v_dual_sub_nc_u32 v40, v34, v117
	s_delay_alu instid0(VALU_DEP_1) | instskip(SKIP_1) | instid1(VALU_DEP_2)
	v_and_b32_e32 v119, 0xfffffe00, v116
	v_dual_ashrrev_i32 v117, 5, v101 :: v_dual_ashrrev_i32 v116, 9, v116
	v_dual_lshlrev_b32 v34, 4, v40 :: v_dual_sub_nc_u32 v41, v103, v119
	s_delay_alu instid0(VALU_DEP_1) | instskip(NEXT) | instid1(VALU_DEP_2)
	v_lshl_add_u32 v101, v117, 9, v34
	v_cmp_lt_i32_e32 vcc_lo, 15, v41
	s_delay_alu instid0(VALU_DEP_2) | instskip(SKIP_1) | instid1(VALU_DEP_1)
	v_sub_nc_u32_e32 v34, v103, v101
	v_add_co_ci_u32_e64 v116, null, 0, v116, vcc_lo
	v_sub_nc_u32_e32 v42, v116, v117
	s_delay_alu instid0(VALU_DEP_3)
	v_cmpx_lt_i32_e32 15, v34
	s_cbranch_execz .LBB2_173
; %bb.170:                              ;   in Loop: Header=BB2_93 Depth=3
	v_add_nc_u32_e32 v116, v101, v118
	s_mov_b32 s44, 0
	s_delay_alu instid0(VALU_DEP_1)
	v_ashrrev_i32_e32 v117, 31, v116
.LBB2_171:                              ;   Parent Loop BB2_53 Depth=1
                                        ;     Parent Loop BB2_89 Depth=2
                                        ;       Parent Loop BB2_93 Depth=3
                                        ; =>      This Inner Loop Header: Depth=4
	s_delay_alu instid0(VALU_DEP_1) | instskip(SKIP_4) | instid1(VALU_DEP_4)
	v_add_nc_u64_e32 v[44:45], v[112:113], v[116:117]
	v_sub_nc_u32_e32 v34, v34, v52
	v_add_nc_u64_e32 v[60:61], v[114:115], v[116:117]
	v_add_nc_u64_e32 v[116:117], v[116:117], v[52:53]
	v_sub_nc_u32_e32 v42, v42, v36
	v_cmp_gt_i32_e64 s10, 16, v34
	global_load_b128 v[44:47], v[44:45], off th:TH_LOAD_NT
	s_or_b32 s44, s10, s44
	s_wait_loadcnt 0x0
	global_store_b128 v[60:61], v[44:47], off th:TH_STORE_NT
	s_wait_xcnt 0x0
	s_and_not1_b32 exec_lo, exec_lo, s44
	s_cbranch_execnz .LBB2_171
; %bb.172:                              ;   in Loop: Header=BB2_93 Depth=3
	s_or_b32 exec_lo, exec_lo, s44
.LBB2_173:                              ;   in Loop: Header=BB2_93 Depth=3
	s_delay_alu instid0(SALU_CYCLE_1) | instskip(SKIP_3) | instid1(VALU_DEP_1)
	s_or_b32 exec_lo, exec_lo, s43
	v_dual_mov_b32 v34, 0 :: v_dual_bitop2_b32 v117, 15, v9 bitop3:0x40
	s_mov_b32 s43, 0
	s_mov_b32 s44, exec_lo
                                        ; implicit-def: $vgpr103
                                        ; implicit-def: $vgpr116
	v_cndmask_b32_e32 v101, v41, v117, vcc_lo
	s_delay_alu instid0(VALU_DEP_1)
	v_cmpx_ne_u32_e32 0, v101
	s_cbranch_execz .LBB2_175
; %bb.174:                              ;   in Loop: Header=BB2_93 Depth=3
	v_cmp_lt_i32_e64 s10, 0, v42
	s_mov_b32 s43, exec_lo
	v_dual_sub_nc_u32 v116, v41, v117 :: v_dual_cndmask_b32 v34, 0, v36, s10
	s_delay_alu instid0(VALU_DEP_1) | instskip(NEXT) | instid1(VALU_DEP_1)
	v_dual_cndmask_b32 v116, 0, v116, vcc_lo :: v_dual_sub_nc_u32 v34, v34, v42
	v_lshl_add_u32 v103, v34, 5, v40
	s_delay_alu instid0(VALU_DEP_1) | instskip(NEXT) | instid1(VALU_DEP_1)
	v_ashrrev_i32_e32 v34, 31, v103
	v_lshrrev_b32_e32 v34, 27, v34
	s_delay_alu instid0(VALU_DEP_1) | instskip(SKIP_1) | instid1(VALU_DEP_2)
	v_add_nc_u32_e32 v117, v103, v34
	v_add3_u32 v34, v119, v118, v116
	v_ashrrev_i32_e32 v116, 5, v117
.LBB2_175:                              ;   in Loop: Header=BB2_93 Depth=3
	s_or_b32 exec_lo, exec_lo, s44
	s_delay_alu instid0(SALU_CYCLE_1)
	s_and_b32 s43, s43, exec_lo
.LBB2_176:                              ;   in Loop: Header=BB2_93 Depth=3
	s_or_b32 exec_lo, exec_lo, s42
	s_and_saveexec_b32 s10, s43
	s_cbranch_execz .LBB2_185
.LBB2_177:                              ;   in Loop: Header=BB2_93 Depth=3
	v_ashrrev_i32_e32 v117, 31, v101
	s_mov_b32 s42, exec_lo
	s_delay_alu instid0(VALU_DEP_1) | instskip(NEXT) | instid1(VALU_DEP_1)
	v_lshrrev_b32_e32 v117, 24, v117
	v_add_nc_u32_e32 v117, v101, v117
	s_delay_alu instid0(VALU_DEP_1) | instskip(NEXT) | instid1(VALU_DEP_1)
	v_dual_ashrrev_i32 v40, 8, v117 :: v_dual_ashrrev_i32 v117, 31, v103
	v_dual_sub_nc_u32 v118, v40, v116 :: v_dual_lshrrev_b32 v119, 27, v117
	s_delay_alu instid0(VALU_DEP_1)
	v_cmpx_lt_i32_e32 0, v118
	s_cbranch_execz .LBB2_181
; %bb.178:                              ;   in Loop: Header=BB2_93 Depth=3
	s_delay_alu instid0(VALU_DEP_2) | instskip(SKIP_1) | instid1(VALU_DEP_1)
	v_dual_add_nc_u32 v117, v103, v119 :: v_dual_lshlrev_b32 v116, 8, v116
	s_mov_b32 s43, 0
	v_and_b32_e32 v117, 0xffffffe0, v117
	s_delay_alu instid0(VALU_DEP_1) | instskip(NEXT) | instid1(VALU_DEP_1)
	v_sub_nc_u32_e32 v117, v103, v117
	v_add3_u32 v116, v34, v117, v116
	s_delay_alu instid0(VALU_DEP_1)
	v_ashrrev_i32_e32 v117, 31, v116
.LBB2_179:                              ;   Parent Loop BB2_53 Depth=1
                                        ;     Parent Loop BB2_89 Depth=2
                                        ;       Parent Loop BB2_93 Depth=3
                                        ; =>      This Inner Loop Header: Depth=4
	s_delay_alu instid0(VALU_DEP_1)
	v_add_nc_u64_e32 v[42:43], v[116:117], v[112:113]
	v_sub_nc_u32_e32 v118, v118, v36
	v_add_nc_u64_e32 v[112:113], v[112:113], v[54:55]
	s_clause 0x7
	flat_load_u8 v41, v[42:43] th:TH_LOAD_NT
	flat_load_u8 v44, v[42:43] offset:32 th:TH_LOAD_NT
	flat_load_u8 v45, v[42:43] offset:64 th:TH_LOAD_NT
	;; [unrolled: 1-line block ×7, first 2 shown]
	s_wait_xcnt 0x0
	v_add_nc_u64_e32 v[42:43], v[116:117], v[114:115]
	v_add_nc_u64_e32 v[114:115], v[114:115], v[54:55]
	v_cmp_gt_i32_e32 vcc_lo, 1, v118
	s_wait_loadcnt_dscnt 0x707
	flat_store_b8 v[42:43], v41 th:TH_STORE_NT
	s_wait_loadcnt_dscnt 0x607
	flat_store_b8 v[42:43], v44 offset:32 th:TH_STORE_NT
	s_wait_loadcnt_dscnt 0x507
	flat_store_b8 v[42:43], v45 offset:64 th:TH_STORE_NT
	;; [unrolled: 2-line block ×7, first 2 shown]
	s_or_b32 s43, vcc_lo, s43
	s_wait_xcnt 0x0
	s_and_not1_b32 exec_lo, exec_lo, s43
	s_cbranch_execnz .LBB2_179
; %bb.180:                              ;   in Loop: Header=BB2_93 Depth=3
	s_or_b32 exec_lo, exec_lo, s43
.LBB2_181:                              ;   in Loop: Header=BB2_93 Depth=3
	s_delay_alu instid0(SALU_CYCLE_1) | instskip(SKIP_1) | instid1(VALU_DEP_1)
	s_or_b32 exec_lo, exec_lo, s42
	v_lshlrev_b32_e32 v112, 8, v40
	v_cmp_ne_u32_e32 vcc_lo, v101, v112
	s_and_b32 exec_lo, exec_lo, vcc_lo
	s_cbranch_execz .LBB2_185
; %bb.182:                              ;   in Loop: Header=BB2_93 Depth=3
	v_add_nc_u32_e32 v113, v103, v119
	s_delay_alu instid0(VALU_DEP_1) | instskip(NEXT) | instid1(VALU_DEP_1)
	v_and_b32_e32 v113, 0xffffffe0, v113
	v_dual_sub_nc_u32 v103, v103, v113 :: v_dual_lshlrev_b32 v113, 5, v118
	s_delay_alu instid0(VALU_DEP_1) | instskip(NEXT) | instid1(VALU_DEP_1)
	v_sub_nc_u32_e32 v103, v103, v113
	v_add_nc_u32_e32 v103, v112, v103
	s_delay_alu instid0(VALU_DEP_1) | instskip(NEXT) | instid1(VALU_DEP_1)
	v_sub_nc_u32_e32 v101, v101, v103
	v_cmp_lt_i32_e32 vcc_lo, 0, v101
	s_and_b32 exec_lo, exec_lo, vcc_lo
	s_cbranch_execz .LBB2_185
; %bb.183:                              ;   in Loop: Header=BB2_93 Depth=3
	s_trap 2
	ds_load_b64 v[112:113], v0
	v_add_nc_u32_e32 v114, v103, v34
	s_mov_b32 s42, 0
	s_delay_alu instid0(VALU_DEP_1)
	v_ashrrev_i32_e32 v115, 31, v114
.LBB2_184:                              ;   Parent Loop BB2_53 Depth=1
                                        ;     Parent Loop BB2_89 Depth=2
                                        ;       Parent Loop BB2_93 Depth=3
                                        ; =>      This Inner Loop Header: Depth=4
	s_wait_dscnt 0x0
	s_delay_alu instid0(VALU_DEP_1) | instskip(SKIP_2) | instid1(VALU_DEP_2)
	v_add_nc_u64_e32 v[116:117], v[112:113], v[114:115]
	v_sub_nc_u32_e32 v101, v101, v38
	v_add_nc_u64_e32 v[114:115], v[114:115], v[38:39]
	v_cmp_gt_i32_e32 vcc_lo, 1, v101
	flat_load_u8 v34, v[116:117] th:TH_LOAD_NT
	s_or_b32 s42, vcc_lo, s42
	s_wait_loadcnt_dscnt 0x0
	flat_store_b8 v[116:117], v34 th:TH_STORE_NT
	s_wait_xcnt 0x0
	s_and_not1_b32 exec_lo, exec_lo, s42
	s_cbranch_execnz .LBB2_184
.LBB2_185:                              ;   in Loop: Header=BB2_93 Depth=3
	s_or_b32 exec_lo, exec_lo, s10
	v_cmp_lt_i32_e64 s10, 0, v9
	s_and_saveexec_b32 s42, s1
	s_cbranch_execz .LBB2_204
.LBB2_186:                              ;   in Loop: Header=BB2_93 Depth=3
	s_and_saveexec_b32 s43, s2
	s_delay_alu instid0(SALU_CYCLE_1)
	s_xor_b32 s43, exec_lo, s43
	s_cbranch_execz .LBB2_201
; %bb.187:                              ;   in Loop: Header=BB2_93 Depth=3
	s_and_saveexec_b32 s44, s5
	s_cbranch_execz .LBB2_200
; %bb.188:                              ;   in Loop: Header=BB2_93 Depth=3
	s_mov_b32 s46, exec_lo
	s_mov_b32 s45, exec_lo
	v_mbcnt_lo_u32_b32 v9, s46, 0
	global_wb scope:SCOPE_DEV
	s_wait_storecnt 0x0
	s_wait_loadcnt_dscnt 0x0
	global_inv scope:SCOPE_DEV
	v_cmpx_eq_u32_e32 0, v9
	s_cbranch_execz .LBB2_190
; %bb.189:                              ;   in Loop: Header=BB2_93 Depth=3
	s_bcnt1_i32_b32 s46, s46
	s_delay_alu instid0(SALU_CYCLE_1)
	v_mov_b32_e32 v34, s46
	s_wait_loadcnt 0x0
	ds_add_u64 v0, v[34:35]
	s_trap 2
.LBB2_190:                              ;   in Loop: Header=BB2_93 Depth=3
	s_or_b32 exec_lo, exec_lo, s45
	s_trap 2
	ds_load_b64 v[112:113], v0
	s_wait_dscnt 0x0
	v_add_nc_u64_e32 v[10:11], v[10:11], v[36:37]
	s_mov_b32 s45, exec_lo
	s_delay_alu instid0(VALU_DEP_1)
	v_cmpx_lt_u64_e64 v[112:113], v[10:11]
	s_cbranch_execz .LBB2_199
; %bb.191:                              ;   in Loop: Header=BB2_93 Depth=3
	s_mov_b32 s46, 0
	s_mov_b32 s57, 0
                                        ; implicit-def: $sgpr47
                                        ; implicit-def: $sgpr56
	s_branch .LBB2_193
.LBB2_192:                              ;   in Loop: Header=BB2_193 Depth=4
	s_or_b32 exec_lo, exec_lo, s59
	s_delay_alu instid0(SALU_CYCLE_1) | instskip(NEXT) | instid1(SALU_CYCLE_1)
	s_and_b32 s58, exec_lo, s60
	s_or_b32 s46, s58, s46
	s_and_not1_b32 s47, s47, exec_lo
	s_and_b32 s58, s56, exec_lo
	s_delay_alu instid0(SALU_CYCLE_1)
	s_or_b32 s47, s47, s58
	s_and_not1_b32 exec_lo, exec_lo, s46
	s_cbranch_execz .LBB2_197
.LBB2_193:                              ;   Parent Loop BB2_53 Depth=1
                                        ;     Parent Loop BB2_89 Depth=2
                                        ;       Parent Loop BB2_93 Depth=3
                                        ; =>      This Inner Loop Header: Depth=4
	s_add_co_i32 s57, s57, 1
	s_delay_alu instid0(SALU_CYCLE_1) | instskip(SKIP_1) | instid1(SALU_CYCLE_1)
	s_cmp_lg_u32 s57, 0x2710
	s_cselect_b32 s58, -1, 0
	s_and_b32 vcc_lo, exec_lo, s58
	s_cbranch_vccz .LBB2_195
; %bb.194:                              ;   in Loop: Header=BB2_193 Depth=4
	s_mov_b32 s60, -1
	s_or_b32 s56, s56, exec_lo
	s_and_saveexec_b32 s59, s58
	s_cbranch_execz .LBB2_192
	s_branch .LBB2_196
.LBB2_195:                              ;   in Loop: Header=BB2_193 Depth=4
	s_trap 2
	ds_load_b64 v[112:113], v0
	s_and_not1_b32 s58, s58, exec_lo
	s_mov_b32 s57, 0
	s_wait_loadcnt_dscnt 0x0
	flat_load_b32 v9, v[112:113] scope:SCOPE_SYS
	s_wait_loadcnt_dscnt 0x0
	global_inv scope:SCOPE_SYS
	v_cmp_eq_u32_e32 vcc_lo, 0, v9
	s_and_b32 s59, vcc_lo, exec_lo
	s_delay_alu instid0(SALU_CYCLE_1)
	s_or_b32 s58, s58, s59
	s_mov_b32 s60, -1
	s_or_b32 s56, s56, exec_lo
	s_and_saveexec_b32 s59, s58
	s_cbranch_execz .LBB2_192
.LBB2_196:                              ;   in Loop: Header=BB2_193 Depth=4
	s_sleep 1
	s_trap 2
	ds_load_b64 v[112:113], v0
	s_wait_dscnt 0x0
	s_and_not1_b32 s56, s56, exec_lo
	v_cmp_ge_u64_e32 vcc_lo, v[112:113], v[10:11]
	s_or_not1_b32 s60, vcc_lo, exec_lo
	s_branch .LBB2_192
.LBB2_197:                              ;   in Loop: Header=BB2_93 Depth=3
	s_or_b32 exec_lo, exec_lo, s46
	s_and_saveexec_b32 s46, s47
	s_delay_alu instid0(SALU_CYCLE_1)
	s_xor_b32 s46, exec_lo, s46
	s_cbranch_execz .LBB2_199
; %bb.198:                              ;   in Loop: Header=BB2_93 Depth=3
	ds_store_b32 v0, v57
	s_trap 2
.LBB2_199:                              ;   in Loop: Header=BB2_93 Depth=3
	s_or_b32 exec_lo, exec_lo, s45
	;;#ASMSTART
	s_wakeup
	;;#ASMEND
.LBB2_200:                              ;   in Loop: Header=BB2_93 Depth=3
	s_or_b32 exec_lo, exec_lo, s44
.LBB2_201:                              ;   in Loop: Header=BB2_93 Depth=3
	s_and_not1_saveexec_b32 s43, s43
	s_cbranch_execz .LBB2_203
; %bb.202:                              ;   in Loop: Header=BB2_93 Depth=3
	global_wb scope:SCOPE_DEV
	s_wait_storecnt 0x0
	s_wait_loadcnt_dscnt 0x0
	global_inv scope:SCOPE_DEV
	s_barrier_signal -1
	s_barrier_wait -1
.LBB2_203:                              ;   in Loop: Header=BB2_93 Depth=3
	s_or_b32 exec_lo, exec_lo, s43
.LBB2_204:                              ;   in Loop: Header=BB2_93 Depth=3
	s_delay_alu instid0(SALU_CYCLE_1) | instskip(SKIP_1) | instid1(VALU_DEP_1)
	s_or_b32 exec_lo, exec_lo, s42
	v_and_b32_e32 v9, 16, v82
	v_cmp_ne_u32_e32 vcc_lo, 0, v9
	s_and_b32 s42, vcc_lo, s10
	s_delay_alu instid0(SALU_CYCLE_1)
	s_and_saveexec_b32 s10, s42
	s_cbranch_execz .LBB2_206
; %bb.205:                              ;   in Loop: Header=BB2_93 Depth=3
	global_wb scope:SCOPE_SYS
	s_wait_storecnt 0x0
	s_wait_loadcnt_dscnt 0x0
	global_inv scope:SCOPE_SYS
.LBB2_206:                              ;   in Loop: Header=BB2_93 Depth=3
	s_or_b32 exec_lo, exec_lo, s10
	s_delay_alu instid0(SALU_CYCLE_1)
	s_mov_b32 s10, exec_lo
	v_cmpx_ne_u32_e32 0, v9
	s_cbranch_execz .LBB2_92
; %bb.207:                              ;   in Loop: Header=BB2_93 Depth=3
	s_and_saveexec_b32 s42, s4
	s_cbranch_execz .LBB2_91
; %bb.208:                              ;   in Loop: Header=BB2_93 Depth=3
	global_wb scope:SCOPE_SYS
	s_wait_storecnt 0x0
	s_wait_loadcnt_dscnt 0x0
	flat_store_b32 v[24:25], v57 scope:SCOPE_SYS
	s_branch .LBB2_91
.LBB2_209:                              ;   in Loop: Header=BB2_89 Depth=2
	s_or_b32 exec_lo, exec_lo, s29
.LBB2_210:                              ;   in Loop: Header=BB2_89 Depth=2
	s_delay_alu instid0(SALU_CYCLE_1) | instskip(NEXT) | instid1(SALU_CYCLE_1)
	s_or_b32 exec_lo, exec_lo, s28
	s_mov_b32 s28, exec_lo
	v_cmpx_gt_i32_e32 2, v9
	s_cbranch_execz .LBB2_261
; %bb.211:                              ;   in Loop: Header=BB2_89 Depth=2
	v_cmp_eq_u32_e64 s40, 0, v9
	s_mov_b32 s29, 0
	s_branch .LBB2_214
.LBB2_212:                              ;   in Loop: Header=BB2_214 Depth=3
	s_wait_xcnt 0x0
	s_or_b32 exec_lo, exec_lo, s40
	v_add_nc_u64_e32 v[84:85], 2, v[84:85]
	global_wb scope:SCOPE_SYS
	s_wait_storecnt 0x0
	s_wait_loadcnt_dscnt 0x0
	flat_store_b64 v[18:19], v[84:85] scope:SCOPE_SYS
.LBB2_213:                              ;   in Loop: Header=BB2_214 Depth=3
	s_wait_xcnt 0x0
	s_or_b32 exec_lo, exec_lo, s10
	v_add_nc_u32_e32 v102, v100, v102
	s_mov_b32 s40, 0
	s_and_not1_b32 exec_lo, exec_lo, s29
	s_cbranch_execz .LBB2_260
.LBB2_214:                              ;   Parent Loop BB2_53 Depth=1
                                        ;     Parent Loop BB2_89 Depth=2
                                        ; =>    This Loop Header: Depth=3
                                        ;         Child Loop BB2_220 Depth 4
                                        ;         Child Loop BB2_244 Depth 4
	s_delay_alu instid0(VALU_DEP_1) | instskip(SKIP_2) | instid1(VALU_DEP_2)
	v_sub_nc_u32_e32 v9, v8, v102
	v_and_b32_e32 v34, 8, v82
	s_mov_b32 s41, exec_lo
	v_min_i32_e32 v100, v100, v9
	s_delay_alu instid0(VALU_DEP_2)
	v_cmpx_ne_u32_e32 0, v34
	s_cbranch_execz .LBB2_236
; %bb.215:                              ;   in Loop: Header=BB2_214 Depth=3
	s_wait_loadcnt 0x0
	v_add_nc_u64_e32 v[114:115], 8, v[26:27]
	v_add_nc_u64_e32 v[112:113], 2, v[84:85]
	s_mov_b32 s42, exec_lo
	s_delay_alu instid0(VALU_DEP_1)
	v_cmpx_lt_u64_e64 v[114:115], v[112:113]
	s_cbranch_execz .LBB2_227
; %bb.216:                              ;   in Loop: Header=BB2_214 Depth=3
	v_and_b32_e32 v9, 64, v82
	s_mov_b32 s43, 0
	s_mov_b32 s47, 0
                                        ; implicit-def: $sgpr44
                                        ; implicit-def: $sgpr45
                                        ; implicit-def: $sgpr46
	s_delay_alu instid0(VALU_DEP_1)
	v_cmp_eq_u32_e32 vcc_lo, 0, v9
	s_branch .LBB2_220
.LBB2_217:                              ;   in Loop: Header=BB2_220 Depth=4
	s_wait_loadcnt_dscnt 0x0
	v_add_nc_u64_e32 v[114:115], 8, v[26:27]
	s_or_b32 s58, s58, exec_lo
	s_delay_alu instid0(VALU_DEP_1)
	v_cmp_ge_u64_e64 s10, v[114:115], v[112:113]
	s_or_not1_b32 s57, s10, exec_lo
.LBB2_218:                              ;   in Loop: Header=BB2_220 Depth=4
	s_or_b32 exec_lo, exec_lo, s60
	s_delay_alu instid0(SALU_CYCLE_1)
	s_and_not1_b32 s10, s46, exec_lo
	s_and_b32 s46, s58, exec_lo
	s_and_not1_b32 s45, s45, exec_lo
	s_and_b32 s57, s57, exec_lo
	s_or_b32 s46, s10, s46
	s_or_b32 s45, s45, s57
.LBB2_219:                              ;   in Loop: Header=BB2_220 Depth=4
	s_or_b32 exec_lo, exec_lo, s56
	s_delay_alu instid0(SALU_CYCLE_1) | instskip(NEXT) | instid1(SALU_CYCLE_1)
	s_and_b32 s10, exec_lo, s45
	s_or_b32 s43, s10, s43
	s_and_not1_b32 s10, s44, exec_lo
	s_and_b32 s44, s46, exec_lo
	s_delay_alu instid0(SALU_CYCLE_1)
	s_or_b32 s44, s10, s44
	s_and_not1_b32 exec_lo, exec_lo, s43
	s_cbranch_execz .LBB2_224
.LBB2_220:                              ;   Parent Loop BB2_53 Depth=1
                                        ;     Parent Loop BB2_89 Depth=2
                                        ;       Parent Loop BB2_214 Depth=3
                                        ; =>      This Inner Loop Header: Depth=4
	s_sleep 1
	s_wait_loadcnt_dscnt 0x0
	flat_load_b64 v[26:27], v[18:19] scope:SCOPE_SYS
	s_or_b32 s46, s46, exec_lo
	s_or_b32 s45, s45, exec_lo
                                        ; implicit-def: $vgpr9
	s_wait_xcnt 0x0
	s_and_saveexec_b32 s56, vcc_lo
	s_cbranch_execz .LBB2_219
; %bb.221:                              ;   in Loop: Header=BB2_220 Depth=4
	s_cmp_lt_i32 s47, 0x270f
	s_mov_b32 s57, -1
	s_cselect_b32 s59, -1, 0
	s_cmp_gt_i32 s47, 0x270e
	s_cbranch_scc0 .LBB2_223
; %bb.222:                              ;   in Loop: Header=BB2_220 Depth=4
	s_trap 2
	ds_load_b64 v[114:115], v0
	s_and_not1_b32 s47, s59, exec_lo
	s_mov_b32 s58, 0
	s_wait_storecnt 0x0
	s_wait_loadcnt_dscnt 0x0
	flat_load_b32 v9, v[114:115] scope:SCOPE_SYS
	s_wait_loadcnt_dscnt 0x0
	global_inv scope:SCOPE_SYS
	v_cmp_eq_u32_e64 s10, 0, v9
	s_and_b32 s10, s10, exec_lo
	s_delay_alu instid0(SALU_CYCLE_1)
	s_or_b32 s59, s47, s10
	s_mov_b32 s47, 0
	s_and_saveexec_b32 s60, s59
	s_cbranch_execz .LBB2_218
	s_branch .LBB2_217
.LBB2_223:                              ;   in Loop: Header=BB2_220 Depth=4
	s_add_co_i32 s47, s47, 1
	s_mov_b32 s58, -1
                                        ; implicit-def: $vgpr9
	s_and_saveexec_b32 s60, s59
	s_cbranch_execz .LBB2_218
	s_branch .LBB2_217
.LBB2_224:                              ;   in Loop: Header=BB2_214 Depth=3
	s_or_b32 exec_lo, exec_lo, s43
	s_xor_b32 s10, s44, -1
	s_delay_alu instid0(SALU_CYCLE_1) | instskip(NEXT) | instid1(SALU_CYCLE_1)
	s_and_saveexec_b32 s43, s10
	s_xor_b32 s10, exec_lo, s43
	s_cbranch_execz .LBB2_226
; %bb.225:                              ;   in Loop: Header=BB2_214 Depth=3
	v_or_b32_e32 v82, 64, v82
	s_wait_storecnt 0x0
	s_wait_loadcnt_dscnt 0x0
	ds_store_b32 v0, v9
	s_trap 2
.LBB2_226:                              ;   in Loop: Header=BB2_214 Depth=3
	s_or_b32 exec_lo, exec_lo, s10
.LBB2_227:                              ;   in Loop: Header=BB2_214 Depth=3
	s_delay_alu instid0(SALU_CYCLE_1)
	s_or_b32 exec_lo, exec_lo, s42
	v_and_b32_e32 v9, 0x100, v82
	v_and_b32_e32 v34, 7, v84
	s_mov_b32 s10, -1
	s_mov_b32 s42, exec_lo
	;;#ASMSTART
	s_wakeup
	;;#ASMEND
                                        ; implicit-def: $vgpr84_vgpr85
	v_cmpx_ne_u32_e32 0, v9
	s_cbranch_execz .LBB2_231
; %bb.228:                              ;   in Loop: Header=BB2_214 Depth=3
	v_mad_nc_u64_u32 v[114:115], v34, 24, v[4:5]
	v_ashrrev_i32_e32 v101, 31, v100
	s_mov_b32 s43, exec_lo
                                        ; implicit-def: $vgpr84_vgpr85
	s_clause 0x1
	flat_load_b32 v9, v[114:115]
	flat_store_b64 v[114:115], v[100:101] offset:8
	s_wait_loadcnt_dscnt 0x1
	v_cmp_ne_u32_e32 vcc_lo, 1, v9
	s_wait_xcnt 0x0
	v_cmpx_eq_u32_e32 1, v9
	s_cbranch_execz .LBB2_230
; %bb.229:                              ;   in Loop: Header=BB2_214 Depth=3
	flat_load_b32 v84, v[114:115] offset:4 scope:SCOPE_SYS
	s_wait_loadcnt_dscnt 0x0
	v_ashrrev_i32_e32 v85, 31, v84
.LBB2_230:                              ;   in Loop: Header=BB2_214 Depth=3
	s_wait_xcnt 0x0
	s_or_b32 exec_lo, exec_lo, s43
	s_delay_alu instid0(SALU_CYCLE_1)
	s_or_not1_b32 s10, vcc_lo, exec_lo
.LBB2_231:                              ;   in Loop: Header=BB2_214 Depth=3
	s_or_b32 exec_lo, exec_lo, s42
	s_and_saveexec_b32 s42, s10
; %bb.232:                              ;   in Loop: Header=BB2_214 Depth=3
	v_mul_u64_e32 v[84:85], v[34:35], v[20:21]
; %bb.233:                              ;   in Loop: Header=BB2_214 Depth=3
	s_or_b32 exec_lo, exec_lo, s42
	s_delay_alu instid0(VALU_DEP_1)
	v_add_nc_u64_e32 v[84:85], v[22:23], v[84:85]
	v_and_b32_e32 v9, 0x2000, v82
	s_mov_b32 s10, exec_lo
	ds_store_b64 v0, v[84:85] offset:784
	v_cmpx_ne_u32_e32 0, v9
	s_cbranch_execz .LBB2_235
; %bb.234:                              ;   in Loop: Header=BB2_214 Depth=3
	ds_load_b64 v[84:85], v0 offset:872
	s_wait_dscnt 0x0
	v_add_nc_u64_e32 v[84:85], 1, v[84:85]
	ds_store_b64 v0, v[84:85] offset:872
.LBB2_235:                              ;   in Loop: Header=BB2_214 Depth=3
	s_or_b32 exec_lo, exec_lo, s10
	v_mov_b64_e32 v[84:85], v[112:113]
.LBB2_236:                              ;   in Loop: Header=BB2_214 Depth=3
	s_or_b32 exec_lo, exec_lo, s41
	s_xor_b32 s10, s40, -1
	s_delay_alu instid0(SALU_CYCLE_1) | instskip(NEXT) | instid1(SALU_CYCLE_1)
	s_and_b32 s10, exec_lo, s10
	s_or_b32 s29, s10, s29
	s_and_saveexec_b32 s10, s1
	s_cbranch_execz .LBB2_255
; %bb.237:                              ;   in Loop: Header=BB2_214 Depth=3
	s_and_saveexec_b32 s40, s2
	s_delay_alu instid0(SALU_CYCLE_1)
	s_xor_b32 s40, exec_lo, s40
	s_cbranch_execz .LBB2_252
; %bb.238:                              ;   in Loop: Header=BB2_214 Depth=3
	s_and_saveexec_b32 s41, s5
	s_cbranch_execz .LBB2_251
; %bb.239:                              ;   in Loop: Header=BB2_214 Depth=3
	s_mov_b32 s43, exec_lo
	s_mov_b32 s42, exec_lo
	v_mbcnt_lo_u32_b32 v9, s43, 0
	global_wb scope:SCOPE_DEV
	s_wait_storecnt 0x0
	s_wait_loadcnt_dscnt 0x0
	global_inv scope:SCOPE_DEV
	v_cmpx_eq_u32_e32 0, v9
	s_cbranch_execz .LBB2_241
; %bb.240:                              ;   in Loop: Header=BB2_214 Depth=3
	s_bcnt1_i32_b32 s43, s43
	s_delay_alu instid0(SALU_CYCLE_1)
	v_mov_b32_e32 v34, s43
	s_wait_loadcnt 0x0
	ds_add_u64 v0, v[34:35]
	s_trap 2
.LBB2_241:                              ;   in Loop: Header=BB2_214 Depth=3
	s_or_b32 exec_lo, exec_lo, s42
	s_trap 2
	ds_load_b64 v[112:113], v0
	s_wait_dscnt 0x0
	v_add_nc_u64_e32 v[10:11], v[10:11], v[36:37]
	s_mov_b32 s42, exec_lo
	s_delay_alu instid0(VALU_DEP_1)
	v_cmpx_lt_u64_e64 v[112:113], v[10:11]
	s_cbranch_execz .LBB2_250
; %bb.242:                              ;   in Loop: Header=BB2_214 Depth=3
	s_mov_b32 s43, 0
	s_mov_b32 s46, 0
                                        ; implicit-def: $sgpr44
                                        ; implicit-def: $sgpr45
	s_branch .LBB2_244
.LBB2_243:                              ;   in Loop: Header=BB2_244 Depth=4
	s_or_b32 exec_lo, exec_lo, s56
	s_delay_alu instid0(SALU_CYCLE_1) | instskip(NEXT) | instid1(SALU_CYCLE_1)
	s_and_b32 s47, exec_lo, s57
	s_or_b32 s43, s47, s43
	s_and_not1_b32 s44, s44, exec_lo
	s_and_b32 s47, s45, exec_lo
	s_delay_alu instid0(SALU_CYCLE_1)
	s_or_b32 s44, s44, s47
	s_and_not1_b32 exec_lo, exec_lo, s43
	s_cbranch_execz .LBB2_248
.LBB2_244:                              ;   Parent Loop BB2_53 Depth=1
                                        ;     Parent Loop BB2_89 Depth=2
                                        ;       Parent Loop BB2_214 Depth=3
                                        ; =>      This Inner Loop Header: Depth=4
	s_add_co_i32 s46, s46, 1
	s_delay_alu instid0(SALU_CYCLE_1) | instskip(SKIP_1) | instid1(SALU_CYCLE_1)
	s_cmp_lg_u32 s46, 0x2710
	s_cselect_b32 s47, -1, 0
	s_and_b32 vcc_lo, exec_lo, s47
	s_cbranch_vccz .LBB2_246
; %bb.245:                              ;   in Loop: Header=BB2_244 Depth=4
	s_mov_b32 s57, -1
	s_or_b32 s45, s45, exec_lo
	s_and_saveexec_b32 s56, s47
	s_cbranch_execz .LBB2_243
	s_branch .LBB2_247
.LBB2_246:                              ;   in Loop: Header=BB2_244 Depth=4
	s_trap 2
	ds_load_b64 v[112:113], v0
	s_and_not1_b32 s47, s47, exec_lo
	s_mov_b32 s46, 0
	s_wait_loadcnt_dscnt 0x0
	flat_load_b32 v9, v[112:113] scope:SCOPE_SYS
	s_wait_loadcnt_dscnt 0x0
	global_inv scope:SCOPE_SYS
	v_cmp_eq_u32_e32 vcc_lo, 0, v9
	s_and_b32 s56, vcc_lo, exec_lo
	s_delay_alu instid0(SALU_CYCLE_1)
	s_or_b32 s47, s47, s56
	s_mov_b32 s57, -1
	s_or_b32 s45, s45, exec_lo
	s_and_saveexec_b32 s56, s47
	s_cbranch_execz .LBB2_243
.LBB2_247:                              ;   in Loop: Header=BB2_244 Depth=4
	s_sleep 1
	s_trap 2
	ds_load_b64 v[112:113], v0
	s_wait_dscnt 0x0
	s_and_not1_b32 s45, s45, exec_lo
	v_cmp_ge_u64_e32 vcc_lo, v[112:113], v[10:11]
	s_or_not1_b32 s57, vcc_lo, exec_lo
	s_branch .LBB2_243
.LBB2_248:                              ;   in Loop: Header=BB2_214 Depth=3
	s_or_b32 exec_lo, exec_lo, s43
	s_and_saveexec_b32 s43, s44
	s_delay_alu instid0(SALU_CYCLE_1)
	s_xor_b32 s43, exec_lo, s43
	s_cbranch_execz .LBB2_250
; %bb.249:                              ;   in Loop: Header=BB2_214 Depth=3
	ds_store_b32 v0, v57
	s_trap 2
.LBB2_250:                              ;   in Loop: Header=BB2_214 Depth=3
	s_or_b32 exec_lo, exec_lo, s42
	;;#ASMSTART
	s_wakeup
	;;#ASMEND
.LBB2_251:                              ;   in Loop: Header=BB2_214 Depth=3
	s_or_b32 exec_lo, exec_lo, s41
.LBB2_252:                              ;   in Loop: Header=BB2_214 Depth=3
	s_and_not1_saveexec_b32 s40, s40
	s_cbranch_execz .LBB2_254
; %bb.253:                              ;   in Loop: Header=BB2_214 Depth=3
	global_wb scope:SCOPE_DEV
	s_wait_storecnt 0x0
	s_wait_loadcnt_dscnt 0x0
	global_inv scope:SCOPE_DEV
	s_barrier_signal -1
	s_barrier_wait -1
.LBB2_254:                              ;   in Loop: Header=BB2_214 Depth=3
	s_or_b32 exec_lo, exec_lo, s40
.LBB2_255:                              ;   in Loop: Header=BB2_214 Depth=3
	s_delay_alu instid0(SALU_CYCLE_1)
	s_or_b32 exec_lo, exec_lo, s10
	s_trap 2
	ds_load_b32 v9, v0
	v_cmp_lt_i32_e32 vcc_lo, 0, v100
	s_wait_dscnt 0x0
	v_readfirstlane_b32 s10, v9
	v_and_b32_e32 v9, 16, v82
	s_cmp_eq_u32 s10, 0
	s_delay_alu instid0(VALU_DEP_1) | instskip(SKIP_1) | instid1(SALU_CYCLE_1)
	v_cmp_ne_u32_e64 s10, 0, v9
	s_cselect_b32 s40, -1, 0
	s_and_b32 s40, vcc_lo, s40
	s_delay_alu instid0(SALU_CYCLE_1) | instskip(NEXT) | instid1(SALU_CYCLE_1)
	s_and_b32 s40, s10, s40
	s_and_saveexec_b32 s10, s40
	s_cbranch_execz .LBB2_257
; %bb.256:                              ;   in Loop: Header=BB2_214 Depth=3
	global_wb scope:SCOPE_SYS
	s_wait_loadcnt 0x0
	s_wait_storecnt 0x0
	global_inv scope:SCOPE_SYS
.LBB2_257:                              ;   in Loop: Header=BB2_214 Depth=3
	s_or_b32 exec_lo, exec_lo, s10
	s_delay_alu instid0(SALU_CYCLE_1)
	s_mov_b32 s10, exec_lo
	v_cmpx_ne_u32_e32 0, v9
	s_cbranch_execz .LBB2_213
; %bb.258:                              ;   in Loop: Header=BB2_214 Depth=3
	s_and_saveexec_b32 s40, s4
	s_cbranch_execz .LBB2_212
; %bb.259:                              ;   in Loop: Header=BB2_214 Depth=3
	global_wb scope:SCOPE_SYS
	s_wait_loadcnt 0x0
	s_wait_storecnt 0x0
	flat_store_b32 v[24:25], v57 scope:SCOPE_SYS
	s_branch .LBB2_212
.LBB2_260:                              ;   in Loop: Header=BB2_89 Depth=2
	s_or_b32 exec_lo, exec_lo, s29
.LBB2_261:                              ;   in Loop: Header=BB2_89 Depth=2
	s_delay_alu instid0(SALU_CYCLE_1) | instskip(NEXT) | instid1(SALU_CYCLE_1)
	s_or_b32 exec_lo, exec_lo, s28
	s_and_not1_b32 vcc_lo, exec_lo, s26
	s_cbranch_vccnz .LBB2_444
; %bb.262:                              ;   in Loop: Header=BB2_89 Depth=2
	v_max_i32_e32 v114, 0, v8
	s_mov_b32 s28, 0
	s_delay_alu instid0(VALU_DEP_1) | instskip(NEXT) | instid1(VALU_DEP_1)
	v_add_nc_u32_e32 v8, 31, v114
	v_lshrrev_b32_e32 v8, 1, v8
	s_delay_alu instid0(VALU_DEP_1) | instskip(NEXT) | instid1(VALU_DEP_1)
	v_and_b32_e32 v8, 0x3ffffff0, v8
	v_max_i32_e32 v115, s21, v8
	s_branch .LBB2_265
.LBB2_263:                              ;   in Loop: Header=BB2_265 Depth=3
	s_or_b32 exec_lo, exec_lo, s40
.LBB2_264:                              ;   in Loop: Header=BB2_265 Depth=3
	s_delay_alu instid0(SALU_CYCLE_1) | instskip(SKIP_1) | instid1(SALU_CYCLE_1)
	s_or_b32 exec_lo, exec_lo, s29
	s_add_co_i32 s28, s28, 1
	s_cmp_eq_u32 s28, s18
	s_cbranch_scc1 .LBB2_444
.LBB2_265:                              ;   Parent Loop BB2_53 Depth=1
                                        ;     Parent Loop BB2_89 Depth=2
                                        ; =>    This Loop Header: Depth=3
                                        ;         Child Loop BB2_268 Depth 4
                                        ;           Child Loop BB2_276 Depth 5
                                        ;           Child Loop BB2_304 Depth 5
	;; [unrolled: 1-line block ×8, first 2 shown]
                                        ;         Child Loop BB2_393 Depth 4
                                        ;           Child Loop BB2_399 Depth 5
                                        ;           Child Loop BB2_427 Depth 5
	s_delay_alu instid0(VALU_DEP_1)
	v_dual_mov_b32 v9, 0 :: v_dual_mov_b32 v8, v115
	v_mov_b32_e32 v116, 0
	s_and_saveexec_b32 s29, s27
	s_cbranch_execz .LBB2_390
; %bb.266:                              ;   in Loop: Header=BB2_265 Depth=3
	v_dual_mov_b32 v116, 0 :: v_dual_mov_b32 v8, v115
	s_mov_b32 s42, 1
	s_mov_b32 s41, -1
	s_mov_b32 s40, 0
	s_branch .LBB2_268
.LBB2_267:                              ;   in Loop: Header=BB2_268 Depth=4
	s_wait_xcnt 0x0
	s_or_b32 exec_lo, exec_lo, s10
	v_dual_mov_b32 v9, s42 :: v_dual_add_nc_u32 v116, v8, v116
	s_xor_b32 s10, s41, -1
	s_mov_b32 s41, 0
	s_mov_b32 s42, 2
	s_delay_alu instid0(VALU_DEP_1) | instskip(SKIP_1) | instid1(SALU_CYCLE_1)
	v_cmp_ge_i32_e32 vcc_lo, v116, v114
	s_or_b32 s10, s10, vcc_lo
	s_and_b32 s10, exec_lo, s10
	s_delay_alu instid0(SALU_CYCLE_1) | instskip(NEXT) | instid1(SALU_CYCLE_1)
	s_or_b32 s40, s10, s40
	s_and_not1_b32 exec_lo, exec_lo, s40
	s_cbranch_execz .LBB2_389
.LBB2_268:                              ;   Parent Loop BB2_53 Depth=1
                                        ;     Parent Loop BB2_89 Depth=2
                                        ;       Parent Loop BB2_265 Depth=3
                                        ; =>      This Loop Header: Depth=4
                                        ;           Child Loop BB2_276 Depth 5
                                        ;           Child Loop BB2_304 Depth 5
	;; [unrolled: 1-line block ×8, first 2 shown]
	s_and_saveexec_b32 s10, s0
	s_cbranch_execz .LBB2_270
; %bb.269:                              ;   in Loop: Header=BB2_268 Depth=4
	ds_store_b64 v0, v[48:49]
	s_trap 2
.LBB2_270:                              ;   in Loop: Header=BB2_268 Depth=4
	s_or_b32 exec_lo, exec_lo, s10
	v_dual_sub_nc_u32 v9, v114, v116 :: v_dual_bitop2_b32 v34, 12, v82 bitop3:0x40
	s_mov_b32 s43, exec_lo
	s_delay_alu instid0(VALU_DEP_1) | instskip(NEXT) | instid1(VALU_DEP_2)
	v_min_i32_e32 v8, v8, v9
	v_cmpx_ne_u32_e32 0, v34
	s_cbranch_execz .LBB2_296
; %bb.271:                              ;   in Loop: Header=BB2_268 Depth=4
	v_and_b32_e32 v34, 8, v82
	v_add_nc_u64_e32 v[100:101], 2, v[84:85]
	s_mov_b32 s44, exec_lo
	s_wait_loadcnt 0x0
	s_delay_alu instid0(VALU_DEP_2) | instskip(NEXT) | instid1(VALU_DEP_1)
	v_add_nc_u64_e32 v[102:103], v[26:27], v[34:35]
	v_cmpx_lt_u64_e64 v[102:103], v[100:101]
	s_cbranch_execz .LBB2_283
; %bb.272:                              ;   in Loop: Header=BB2_268 Depth=4
	v_and_b32_e32 v9, 64, v82
	s_mov_b32 s45, 0
	s_mov_b32 s57, 0
                                        ; implicit-def: $sgpr46
                                        ; implicit-def: $sgpr47
                                        ; implicit-def: $sgpr56
	s_delay_alu instid0(VALU_DEP_1)
	v_cmp_eq_u32_e32 vcc_lo, 0, v9
	s_branch .LBB2_276
.LBB2_273:                              ;   in Loop: Header=BB2_276 Depth=5
	s_wait_loadcnt_dscnt 0x0
	v_add_nc_u64_e32 v[102:103], v[26:27], v[34:35]
	s_or_b32 s60, s60, exec_lo
	s_delay_alu instid0(VALU_DEP_1)
	v_cmp_ge_u64_e64 s10, v[102:103], v[100:101]
	s_or_not1_b32 s59, s10, exec_lo
.LBB2_274:                              ;   in Loop: Header=BB2_276 Depth=5
	s_or_b32 exec_lo, exec_lo, s62
	s_delay_alu instid0(SALU_CYCLE_1)
	s_and_not1_b32 s10, s56, exec_lo
	s_and_b32 s56, s60, exec_lo
	s_and_not1_b32 s47, s47, exec_lo
	s_and_b32 s59, s59, exec_lo
	s_or_b32 s56, s10, s56
	s_or_b32 s47, s47, s59
.LBB2_275:                              ;   in Loop: Header=BB2_276 Depth=5
	s_or_b32 exec_lo, exec_lo, s58
	s_delay_alu instid0(SALU_CYCLE_1) | instskip(NEXT) | instid1(SALU_CYCLE_1)
	s_and_b32 s10, exec_lo, s47
	s_or_b32 s45, s10, s45
	s_and_not1_b32 s10, s46, exec_lo
	s_and_b32 s46, s56, exec_lo
	s_delay_alu instid0(SALU_CYCLE_1)
	s_or_b32 s46, s10, s46
	s_and_not1_b32 exec_lo, exec_lo, s45
	s_cbranch_execz .LBB2_280
.LBB2_276:                              ;   Parent Loop BB2_53 Depth=1
                                        ;     Parent Loop BB2_89 Depth=2
                                        ;       Parent Loop BB2_265 Depth=3
                                        ;         Parent Loop BB2_268 Depth=4
                                        ; =>        This Inner Loop Header: Depth=5
	s_sleep 1
	s_wait_loadcnt_dscnt 0x0
	flat_load_b64 v[26:27], v[18:19] scope:SCOPE_SYS
	s_or_b32 s56, s56, exec_lo
	s_or_b32 s47, s47, exec_lo
                                        ; implicit-def: $vgpr9
	s_wait_xcnt 0x0
	s_and_saveexec_b32 s58, vcc_lo
	s_cbranch_execz .LBB2_275
; %bb.277:                              ;   in Loop: Header=BB2_276 Depth=5
	s_cmp_lt_i32 s57, 0x270f
	s_mov_b32 s59, -1
	s_cselect_b32 s61, -1, 0
	s_cmp_gt_i32 s57, 0x270e
	s_cbranch_scc0 .LBB2_279
; %bb.278:                              ;   in Loop: Header=BB2_276 Depth=5
	s_trap 2
	ds_load_b64 v[102:103], v0
	s_and_not1_b32 s57, s61, exec_lo
	s_mov_b32 s60, 0
	s_wait_storecnt 0x0
	s_wait_loadcnt_dscnt 0x0
	flat_load_b32 v9, v[102:103] scope:SCOPE_SYS
	s_wait_loadcnt_dscnt 0x0
	global_inv scope:SCOPE_SYS
	v_cmp_eq_u32_e64 s10, 0, v9
	s_and_b32 s10, s10, exec_lo
	s_delay_alu instid0(SALU_CYCLE_1)
	s_or_b32 s61, s57, s10
	s_mov_b32 s57, 0
	s_and_saveexec_b32 s62, s61
	s_cbranch_execz .LBB2_274
	s_branch .LBB2_273
.LBB2_279:                              ;   in Loop: Header=BB2_276 Depth=5
	s_add_co_i32 s57, s57, 1
	s_mov_b32 s60, -1
                                        ; implicit-def: $vgpr9
	s_and_saveexec_b32 s62, s61
	s_cbranch_execz .LBB2_274
	s_branch .LBB2_273
.LBB2_280:                              ;   in Loop: Header=BB2_268 Depth=4
	s_or_b32 exec_lo, exec_lo, s45
	s_xor_b32 s10, s46, -1
	s_delay_alu instid0(SALU_CYCLE_1) | instskip(NEXT) | instid1(SALU_CYCLE_1)
	s_and_saveexec_b32 s45, s10
	s_xor_b32 s10, exec_lo, s45
	s_cbranch_execz .LBB2_282
; %bb.281:                              ;   in Loop: Header=BB2_268 Depth=4
	v_or_b32_e32 v82, 64, v82
	s_wait_storecnt 0x0
	s_wait_loadcnt_dscnt 0x0
	ds_store_b32 v0, v9
	s_trap 2
.LBB2_282:                              ;   in Loop: Header=BB2_268 Depth=4
	s_or_b32 exec_lo, exec_lo, s10
.LBB2_283:                              ;   in Loop: Header=BB2_268 Depth=4
	s_delay_alu instid0(SALU_CYCLE_1) | instskip(SKIP_4) | instid1(VALU_DEP_2)
	s_or_b32 exec_lo, exec_lo, s44
	v_and_b32_e32 v9, 0x108, v82
	v_and_b32_e32 v84, 7, v84
	s_mov_b32 s10, exec_lo
	;;#ASMSTART
	s_wakeup
	;;#ASMEND
	v_cmpx_ne_u32_e32 0x108, v9
	s_xor_b32 s10, exec_lo, s10
; %bb.284:                              ;   in Loop: Header=BB2_268 Depth=4
	v_mov_b32_e32 v85, v35
; %bb.285:                              ;   in Loop: Header=BB2_268 Depth=4
	s_and_not1_saveexec_b32 s10, s10
	s_cbranch_execz .LBB2_287
; %bb.286:                              ;   in Loop: Header=BB2_268 Depth=4
	v_mad_nc_u64_u32 v[102:103], v84, 24, v[4:5]
	v_dual_ashrrev_i32 v9, 31, v8 :: v_dual_mov_b32 v85, v35
	flat_store_b64 v[102:103], v[8:9] offset:8
.LBB2_287:                              ;   in Loop: Header=BB2_268 Depth=4
	s_wait_xcnt 0x0
	s_or_b32 exec_lo, exec_lo, s10
	v_and_b32_e32 v9, 0x100, v82
	s_mov_b32 s10, -1
	s_mov_b32 s44, exec_lo
                                        ; implicit-def: $vgpr102_vgpr103
	s_delay_alu instid0(VALU_DEP_1)
	v_cmpx_ne_u32_e32 0, v9
	s_cbranch_execz .LBB2_291
; %bb.288:                              ;   in Loop: Header=BB2_268 Depth=4
	v_mad_nc_u64_u32 v[112:113], v84, 24, v[4:5]
	s_mov_b32 s45, exec_lo
                                        ; implicit-def: $vgpr102_vgpr103
	s_delay_alu instid0(VALU_DEP_1)
	v_mad_u32 v113, v85, 24, v113
	flat_load_b32 v9, v[112:113]
	s_wait_loadcnt_dscnt 0x0
	v_cmp_ne_u32_e32 vcc_lo, 1, v9
	s_wait_xcnt 0x0
	v_cmpx_eq_u32_e32 1, v9
	s_cbranch_execz .LBB2_290
; %bb.289:                              ;   in Loop: Header=BB2_268 Depth=4
	flat_load_b32 v102, v[112:113] offset:4 scope:SCOPE_SYS
	s_wait_loadcnt_dscnt 0x0
	v_ashrrev_i32_e32 v103, 31, v102
.LBB2_290:                              ;   in Loop: Header=BB2_268 Depth=4
	s_wait_xcnt 0x0
	s_or_b32 exec_lo, exec_lo, s45
	s_delay_alu instid0(SALU_CYCLE_1)
	s_or_not1_b32 s10, vcc_lo, exec_lo
.LBB2_291:                              ;   in Loop: Header=BB2_268 Depth=4
	s_or_b32 exec_lo, exec_lo, s44
	s_and_saveexec_b32 s44, s10
; %bb.292:                              ;   in Loop: Header=BB2_268 Depth=4
	v_mul_u64_e32 v[102:103], v[84:85], v[20:21]
; %bb.293:                              ;   in Loop: Header=BB2_268 Depth=4
	s_or_b32 exec_lo, exec_lo, s44
	v_cmp_eq_u32_e32 vcc_lo, 0, v34
	s_delay_alu instid0(VALU_DEP_2) | instskip(SKIP_3) | instid1(VALU_DEP_1)
	v_add_nc_u64_e32 v[84:85], v[22:23], v[102:103]
	v_and_b32_e32 v34, 0x2000, v82
	s_mov_b32 s10, exec_lo
	v_cndmask_b32_e32 v9, 0xc8, v59, vcc_lo
	v_add_nc_u32_e32 v9, v0, v9
	ds_store_b64 v9, v[84:85] offset:584
	v_cmpx_ne_u32_e32 0, v34
	s_cbranch_execz .LBB2_295
; %bb.294:                              ;   in Loop: Header=BB2_268 Depth=4
	ds_load_b64 v[84:85], v0 offset:872
	s_wait_dscnt 0x0
	v_add_nc_u64_e32 v[84:85], 1, v[84:85]
	ds_store_b64 v0, v[84:85] offset:872
.LBB2_295:                              ;   in Loop: Header=BB2_268 Depth=4
	s_or_b32 exec_lo, exec_lo, s10
	v_mov_b64_e32 v[84:85], v[100:101]
.LBB2_296:                              ;   in Loop: Header=BB2_268 Depth=4
	s_or_b32 exec_lo, exec_lo, s43
	s_and_saveexec_b32 s10, s1
	s_cbranch_execz .LBB2_315
; %bb.297:                              ;   in Loop: Header=BB2_268 Depth=4
	s_and_saveexec_b32 s43, s2
	s_delay_alu instid0(SALU_CYCLE_1)
	s_xor_b32 s43, exec_lo, s43
	s_cbranch_execz .LBB2_312
; %bb.298:                              ;   in Loop: Header=BB2_268 Depth=4
	s_and_saveexec_b32 s44, s5
	s_cbranch_execz .LBB2_311
; %bb.299:                              ;   in Loop: Header=BB2_268 Depth=4
	s_mov_b32 s46, exec_lo
	s_mov_b32 s45, exec_lo
	v_mbcnt_lo_u32_b32 v9, s46, 0
	global_wb scope:SCOPE_DEV
	s_wait_storecnt 0x0
	s_wait_loadcnt_dscnt 0x0
	global_inv scope:SCOPE_DEV
	v_cmpx_eq_u32_e32 0, v9
	s_cbranch_execz .LBB2_301
; %bb.300:                              ;   in Loop: Header=BB2_268 Depth=4
	s_bcnt1_i32_b32 s46, s46
	s_delay_alu instid0(SALU_CYCLE_1)
	v_mov_b32_e32 v34, s46
	s_wait_loadcnt 0x0
	ds_add_u64 v0, v[34:35]
	s_trap 2
.LBB2_301:                              ;   in Loop: Header=BB2_268 Depth=4
	s_or_b32 exec_lo, exec_lo, s45
	s_trap 2
	ds_load_b64 v[100:101], v0
	s_wait_dscnt 0x0
	v_add_nc_u64_e32 v[10:11], v[10:11], v[36:37]
	s_mov_b32 s45, exec_lo
	s_delay_alu instid0(VALU_DEP_1)
	v_cmpx_lt_u64_e64 v[100:101], v[10:11]
	s_cbranch_execz .LBB2_310
; %bb.302:                              ;   in Loop: Header=BB2_268 Depth=4
	s_mov_b32 s46, 0
	s_mov_b32 s57, 0
                                        ; implicit-def: $sgpr47
                                        ; implicit-def: $sgpr56
	s_branch .LBB2_304
.LBB2_303:                              ;   in Loop: Header=BB2_304 Depth=5
	s_or_b32 exec_lo, exec_lo, s59
	s_delay_alu instid0(SALU_CYCLE_1) | instskip(NEXT) | instid1(SALU_CYCLE_1)
	s_and_b32 s58, exec_lo, s60
	s_or_b32 s46, s58, s46
	s_and_not1_b32 s47, s47, exec_lo
	s_and_b32 s58, s56, exec_lo
	s_delay_alu instid0(SALU_CYCLE_1)
	s_or_b32 s47, s47, s58
	s_and_not1_b32 exec_lo, exec_lo, s46
	s_cbranch_execz .LBB2_308
.LBB2_304:                              ;   Parent Loop BB2_53 Depth=1
                                        ;     Parent Loop BB2_89 Depth=2
                                        ;       Parent Loop BB2_265 Depth=3
                                        ;         Parent Loop BB2_268 Depth=4
                                        ; =>        This Inner Loop Header: Depth=5
	s_add_co_i32 s57, s57, 1
	s_delay_alu instid0(SALU_CYCLE_1) | instskip(SKIP_1) | instid1(SALU_CYCLE_1)
	s_cmp_lg_u32 s57, 0x2710
	s_cselect_b32 s58, -1, 0
	s_and_b32 vcc_lo, exec_lo, s58
	s_cbranch_vccz .LBB2_306
; %bb.305:                              ;   in Loop: Header=BB2_304 Depth=5
	s_mov_b32 s60, -1
	s_or_b32 s56, s56, exec_lo
	s_and_saveexec_b32 s59, s58
	s_cbranch_execz .LBB2_303
	s_branch .LBB2_307
.LBB2_306:                              ;   in Loop: Header=BB2_304 Depth=5
	s_trap 2
	ds_load_b64 v[100:101], v0
	s_and_not1_b32 s58, s58, exec_lo
	s_mov_b32 s57, 0
	s_wait_loadcnt_dscnt 0x0
	flat_load_b32 v9, v[100:101] scope:SCOPE_SYS
	s_wait_loadcnt_dscnt 0x0
	global_inv scope:SCOPE_SYS
	v_cmp_eq_u32_e32 vcc_lo, 0, v9
	s_and_b32 s59, vcc_lo, exec_lo
	s_delay_alu instid0(SALU_CYCLE_1)
	s_or_b32 s58, s58, s59
	s_mov_b32 s60, -1
	s_or_b32 s56, s56, exec_lo
	s_and_saveexec_b32 s59, s58
	s_cbranch_execz .LBB2_303
.LBB2_307:                              ;   in Loop: Header=BB2_304 Depth=5
	s_sleep 1
	s_trap 2
	ds_load_b64 v[100:101], v0
	s_wait_dscnt 0x0
	s_and_not1_b32 s56, s56, exec_lo
	v_cmp_ge_u64_e32 vcc_lo, v[100:101], v[10:11]
	s_or_not1_b32 s60, vcc_lo, exec_lo
	s_branch .LBB2_303
.LBB2_308:                              ;   in Loop: Header=BB2_268 Depth=4
	s_or_b32 exec_lo, exec_lo, s46
	s_and_saveexec_b32 s46, s47
	s_delay_alu instid0(SALU_CYCLE_1)
	s_xor_b32 s46, exec_lo, s46
	s_cbranch_execz .LBB2_310
; %bb.309:                              ;   in Loop: Header=BB2_268 Depth=4
	ds_store_b32 v0, v57
	s_trap 2
.LBB2_310:                              ;   in Loop: Header=BB2_268 Depth=4
	s_or_b32 exec_lo, exec_lo, s45
	;;#ASMSTART
	s_wakeup
	;;#ASMEND
.LBB2_311:                              ;   in Loop: Header=BB2_268 Depth=4
	s_or_b32 exec_lo, exec_lo, s44
.LBB2_312:                              ;   in Loop: Header=BB2_268 Depth=4
	s_and_not1_saveexec_b32 s43, s43
	s_cbranch_execz .LBB2_314
; %bb.313:                              ;   in Loop: Header=BB2_268 Depth=4
	global_wb scope:SCOPE_DEV
	s_wait_storecnt 0x0
	s_wait_loadcnt_dscnt 0x0
	global_inv scope:SCOPE_DEV
	s_barrier_signal -1
	s_barrier_wait -1
.LBB2_314:                              ;   in Loop: Header=BB2_268 Depth=4
	s_or_b32 exec_lo, exec_lo, s43
.LBB2_315:                              ;   in Loop: Header=BB2_268 Depth=4
	s_delay_alu instid0(SALU_CYCLE_1) | instskip(SKIP_3) | instid1(VALU_DEP_1)
	s_or_b32 exec_lo, exec_lo, s10
	s_trap 2
	ds_load_b32 v9, v0
	v_and_b32_e32 v34, 0x4000, v82
	v_cmp_ne_u32_e32 vcc_lo, 0, v34
	s_and_b32 s43, s22, vcc_lo
	s_delay_alu instid0(SALU_CYCLE_1)
	s_and_saveexec_b32 s10, s43
	s_cbranch_execz .LBB2_334
; %bb.316:                              ;   in Loop: Header=BB2_268 Depth=4
	s_and_saveexec_b32 s43, s2
	s_delay_alu instid0(SALU_CYCLE_1)
	s_xor_b32 s43, exec_lo, s43
	s_cbranch_execz .LBB2_331
; %bb.317:                              ;   in Loop: Header=BB2_268 Depth=4
	s_and_saveexec_b32 s44, s5
	s_cbranch_execz .LBB2_330
; %bb.318:                              ;   in Loop: Header=BB2_268 Depth=4
	s_mov_b32 s46, exec_lo
	s_mov_b32 s45, exec_lo
	v_mbcnt_lo_u32_b32 v34, s46, 0
	global_wb scope:SCOPE_DEV
	s_wait_storecnt 0x0
	s_wait_loadcnt_dscnt 0x0
	global_inv scope:SCOPE_DEV
	v_cmpx_eq_u32_e32 0, v34
	s_cbranch_execz .LBB2_320
; %bb.319:                              ;   in Loop: Header=BB2_268 Depth=4
	s_bcnt1_i32_b32 s46, s46
	s_delay_alu instid0(SALU_CYCLE_1)
	v_mov_b32_e32 v34, s46
	s_wait_loadcnt 0x0
	ds_add_u64 v0, v[34:35]
	s_trap 2
.LBB2_320:                              ;   in Loop: Header=BB2_268 Depth=4
	s_or_b32 exec_lo, exec_lo, s45
	s_trap 2
	ds_load_b64 v[100:101], v0
	s_wait_dscnt 0x0
	v_add_nc_u64_e32 v[10:11], v[10:11], v[36:37]
	s_mov_b32 s45, exec_lo
	s_delay_alu instid0(VALU_DEP_1)
	v_cmpx_lt_u64_e64 v[100:101], v[10:11]
	s_cbranch_execz .LBB2_329
; %bb.321:                              ;   in Loop: Header=BB2_268 Depth=4
	s_mov_b32 s46, 0
	s_mov_b32 s57, 0
                                        ; implicit-def: $sgpr47
                                        ; implicit-def: $sgpr56
	s_branch .LBB2_323
.LBB2_322:                              ;   in Loop: Header=BB2_323 Depth=5
	s_or_b32 exec_lo, exec_lo, s59
	s_delay_alu instid0(SALU_CYCLE_1) | instskip(NEXT) | instid1(SALU_CYCLE_1)
	s_and_b32 s58, exec_lo, s60
	s_or_b32 s46, s58, s46
	s_and_not1_b32 s47, s47, exec_lo
	s_and_b32 s58, s56, exec_lo
	s_delay_alu instid0(SALU_CYCLE_1)
	s_or_b32 s47, s47, s58
	s_and_not1_b32 exec_lo, exec_lo, s46
	s_cbranch_execz .LBB2_327
.LBB2_323:                              ;   Parent Loop BB2_53 Depth=1
                                        ;     Parent Loop BB2_89 Depth=2
                                        ;       Parent Loop BB2_265 Depth=3
                                        ;         Parent Loop BB2_268 Depth=4
                                        ; =>        This Inner Loop Header: Depth=5
	s_add_co_i32 s57, s57, 1
	s_delay_alu instid0(SALU_CYCLE_1) | instskip(SKIP_1) | instid1(SALU_CYCLE_1)
	s_cmp_lg_u32 s57, 0x2710
	s_cselect_b32 s58, -1, 0
	s_and_b32 vcc_lo, exec_lo, s58
	s_cbranch_vccz .LBB2_325
; %bb.324:                              ;   in Loop: Header=BB2_323 Depth=5
	s_mov_b32 s60, -1
	s_or_b32 s56, s56, exec_lo
	s_and_saveexec_b32 s59, s58
	s_cbranch_execz .LBB2_322
	s_branch .LBB2_326
.LBB2_325:                              ;   in Loop: Header=BB2_323 Depth=5
	s_trap 2
	ds_load_b64 v[100:101], v0
	s_and_not1_b32 s58, s58, exec_lo
	s_mov_b32 s57, 0
	s_wait_loadcnt_dscnt 0x0
	flat_load_b32 v34, v[100:101] scope:SCOPE_SYS
	s_wait_loadcnt_dscnt 0x0
	global_inv scope:SCOPE_SYS
	v_cmp_eq_u32_e32 vcc_lo, 0, v34
	s_and_b32 s59, vcc_lo, exec_lo
	s_delay_alu instid0(SALU_CYCLE_1)
	s_or_b32 s58, s58, s59
	s_mov_b32 s60, -1
	s_or_b32 s56, s56, exec_lo
	s_and_saveexec_b32 s59, s58
	s_cbranch_execz .LBB2_322
.LBB2_326:                              ;   in Loop: Header=BB2_323 Depth=5
	s_sleep 1
	s_trap 2
	ds_load_b64 v[100:101], v0
	s_wait_dscnt 0x0
	s_and_not1_b32 s56, s56, exec_lo
	v_cmp_ge_u64_e32 vcc_lo, v[100:101], v[10:11]
	s_or_not1_b32 s60, vcc_lo, exec_lo
	s_branch .LBB2_322
.LBB2_327:                              ;   in Loop: Header=BB2_268 Depth=4
	s_or_b32 exec_lo, exec_lo, s46
	s_and_saveexec_b32 s46, s47
	s_delay_alu instid0(SALU_CYCLE_1)
	s_xor_b32 s46, exec_lo, s46
	s_cbranch_execz .LBB2_329
; %bb.328:                              ;   in Loop: Header=BB2_268 Depth=4
	ds_store_b32 v0, v57
	s_trap 2
.LBB2_329:                              ;   in Loop: Header=BB2_268 Depth=4
	s_or_b32 exec_lo, exec_lo, s45
	;;#ASMSTART
	s_wakeup
	;;#ASMEND
.LBB2_330:                              ;   in Loop: Header=BB2_268 Depth=4
	s_or_b32 exec_lo, exec_lo, s44
.LBB2_331:                              ;   in Loop: Header=BB2_268 Depth=4
	s_and_not1_saveexec_b32 s43, s43
	s_cbranch_execz .LBB2_333
; %bb.332:                              ;   in Loop: Header=BB2_268 Depth=4
	global_wb scope:SCOPE_DEV
	s_wait_storecnt 0x0
	s_wait_loadcnt_dscnt 0x0
	global_inv scope:SCOPE_DEV
	s_barrier_signal -1
	s_barrier_wait -1
.LBB2_333:                              ;   in Loop: Header=BB2_268 Depth=4
	s_or_b32 exec_lo, exec_lo, s43
.LBB2_334:                              ;   in Loop: Header=BB2_268 Depth=4
	s_delay_alu instid0(SALU_CYCLE_1)
	s_or_b32 exec_lo, exec_lo, s10
	s_trap 2
	ds_load_b64 v[100:101], v0
	s_wait_dscnt 0x0
	v_cmp_eq_u64_e32 vcc_lo, 0, v[100:101]
	s_cbranch_vccnz .LBB2_342
; %bb.335:                              ;   in Loop: Header=BB2_268 Depth=4
	s_trap 2
	ds_load_b64 v[102:103], v0
	s_wait_dscnt 0x0
	v_cmp_eq_u64_e32 vcc_lo, 0, v[102:103]
	s_cbranch_vccnz .LBB2_342
; %bb.336:                              ;   in Loop: Header=BB2_268 Depth=4
	s_mov_b32 s10, -1
	s_and_saveexec_b32 s43, s7
	s_cbranch_execz .LBB2_338
; %bb.337:                              ;   in Loop: Header=BB2_268 Depth=4
	ds_load_b32 v34, v0 offset:720
	s_wait_dscnt 0x0
	v_and_b32_e32 v34, 15, v34
	s_delay_alu instid0(VALU_DEP_1)
	v_cmp_eq_u32_e32 vcc_lo, 0, v34
	s_or_not1_b32 s10, vcc_lo, exec_lo
.LBB2_338:                              ;   in Loop: Header=BB2_268 Depth=4
	s_or_b32 exec_lo, exec_lo, s43
	s_and_saveexec_b32 s43, s7
	s_cbranch_execz .LBB2_340
; %bb.339:                              ;   in Loop: Header=BB2_268 Depth=4
	ds_load_b32 v34, v0 offset:784
	s_wait_dscnt 0x0
	v_and_b32_e32 v34, 15, v34
	s_delay_alu instid0(VALU_DEP_1) | instskip(SKIP_3) | instid1(SALU_CYCLE_1)
	v_cmp_eq_u32_e32 vcc_lo, 0, v34
	s_and_b32 s44, s10, vcc_lo
	s_and_not1_b32 s10, s10, exec_lo
	s_and_b32 s44, s44, exec_lo
	s_or_b32 s10, s10, s44
.LBB2_340:                              ;   in Loop: Header=BB2_268 Depth=4
	s_or_b32 exec_lo, exec_lo, s43
	v_cmp_eq_u32_e32 vcc_lo, 0, v9
	s_xor_b32 s10, s10, -1
	v_mov_b32_e32 v112, v68
	v_cndmask_b32_e64 v34, 0, 1, s10
	s_mov_b32 s44, -1
	v_dual_cndmask_b32 v9, 0, v8 :: v_dual_mov_b32 v118, v0
	s_delay_alu instid0(VALU_DEP_2) | instskip(NEXT) | instid1(VALU_DEP_2)
	v_cmp_ne_u32_e32 vcc_lo, 0, v34
	v_dual_mov_b32 v34, 0 :: v_dual_mov_b32 v117, v9
	s_cbranch_vccz .LBB2_343
; %bb.341:                              ;   in Loop: Header=BB2_268 Depth=4
	s_and_saveexec_b32 s10, s44
	s_cbranch_execnz .LBB2_356
	s_branch .LBB2_364
.LBB2_342:                              ;   in Loop: Header=BB2_268 Depth=4
	s_mov_b32 s10, 0
	s_and_saveexec_b32 s43, s1
	s_cbranch_execnz .LBB2_365
	s_branch .LBB2_383
.LBB2_343:                              ;   in Loop: Header=BB2_268 Depth=4
	v_ashrrev_i32_e32 v34, 31, v9
	s_mov_b32 s10, exec_lo
	s_delay_alu instid0(VALU_DEP_1) | instskip(NEXT) | instid1(VALU_DEP_1)
	v_lshrrev_b32_e32 v34, 22, v34
	v_add_nc_u32_e32 v34, v9, v34
	s_delay_alu instid0(VALU_DEP_1) | instskip(NEXT) | instid1(VALU_DEP_1)
	v_ashrrev_i32_e32 v34, 10, v34
	v_sub_nc_u32_e32 v40, v34, v68
	s_delay_alu instid0(VALU_DEP_1)
	v_cmpx_lt_i32_e32 0, v40
	s_cbranch_execz .LBB2_347
; %bb.344:                              ;   in Loop: Header=BB2_268 Depth=4
	v_mov_b64_e32 v[112:113], v[70:71]
	s_mov_b32 s43, 0
.LBB2_345:                              ;   Parent Loop BB2_53 Depth=1
                                        ;     Parent Loop BB2_89 Depth=2
                                        ;       Parent Loop BB2_265 Depth=3
                                        ;         Parent Loop BB2_268 Depth=4
                                        ; =>        This Inner Loop Header: Depth=5
	s_delay_alu instid0(VALU_DEP_1)
	v_add_nc_u64_e32 v[118:119], v[100:101], v[112:113]
	v_sub_nc_u32_e32 v40, v40, v36
	s_clause 0x1
	global_load_b128 v[42:45], v[118:119], off th:TH_LOAD_NT
	global_load_b128 v[60:63], v[118:119], off offset:512 th:TH_LOAD_NT
	s_wait_xcnt 0x0
	v_add_nc_u64_e32 v[118:119], v[102:103], v[112:113]
	v_cmp_gt_i32_e32 vcc_lo, 1, v40
	v_add_nc_u64_e32 v[112:113], v[112:113], v[50:51]
	s_wait_loadcnt 0x1
	global_store_b128 v[118:119], v[42:45], off th:TH_STORE_NT
	s_wait_loadcnt 0x0
	global_store_b128 v[118:119], v[60:63], off offset:512 th:TH_STORE_NT
	s_or_b32 s43, vcc_lo, s43
	s_wait_xcnt 0x0
	s_and_not1_b32 exec_lo, exec_lo, s43
	s_cbranch_execnz .LBB2_345
; %bb.346:                              ;   in Loop: Header=BB2_268 Depth=4
	s_or_b32 exec_lo, exec_lo, s43
.LBB2_347:                              ;   in Loop: Header=BB2_268 Depth=4
	s_delay_alu instid0(SALU_CYCLE_1) | instskip(SKIP_3) | instid1(VALU_DEP_1)
	s_or_b32 exec_lo, exec_lo, s10
	v_dual_mov_b32 v34, 0 :: v_dual_lshlrev_b32 v119, 10, v34
	s_mov_b32 s44, 0
	s_mov_b32 s43, exec_lo
                                        ; implicit-def: $vgpr117
                                        ; implicit-def: $vgpr118
                                        ; implicit-def: $vgpr112
	v_cmpx_ne_u32_e64 v9, v119
	s_cbranch_execz .LBB2_355
; %bb.348:                              ;   in Loop: Header=BB2_268 Depth=4
	v_dual_lshlrev_b32 v34, 5, v40 :: v_dual_sub_nc_u32 v113, v9, v119
	s_mov_b32 s44, exec_lo
	s_delay_alu instid0(VALU_DEP_1) | instskip(NEXT) | instid1(VALU_DEP_1)
	v_dual_sub_nc_u32 v34, v58, v34 :: v_dual_ashrrev_i32 v117, 31, v113
	v_dual_ashrrev_i32 v112, 31, v34 :: v_dual_lshrrev_b32 v117, 23, v117
	s_delay_alu instid0(VALU_DEP_1) | instskip(NEXT) | instid1(VALU_DEP_1)
	v_lshrrev_b32_e32 v112, 27, v112
	v_add_nc_u32_e32 v112, v34, v112
	s_delay_alu instid0(VALU_DEP_1) | instskip(NEXT) | instid1(VALU_DEP_1)
	v_and_b32_e32 v118, 0xffffffe0, v112
	v_dual_add_nc_u32 v117, v113, v117 :: v_dual_sub_nc_u32 v41, v34, v118
	s_delay_alu instid0(VALU_DEP_1) | instskip(SKIP_1) | instid1(VALU_DEP_2)
	v_and_b32_e32 v40, 0xfffffe00, v117
	v_dual_ashrrev_i32 v118, 5, v112 :: v_dual_ashrrev_i32 v117, 9, v117
	v_dual_lshlrev_b32 v34, 4, v41 :: v_dual_sub_nc_u32 v42, v113, v40
	s_delay_alu instid0(VALU_DEP_1) | instskip(NEXT) | instid1(VALU_DEP_2)
	v_lshl_add_u32 v112, v118, 9, v34
	v_cmp_lt_i32_e32 vcc_lo, 15, v42
	s_delay_alu instid0(VALU_DEP_2) | instskip(SKIP_1) | instid1(VALU_DEP_1)
	v_sub_nc_u32_e32 v34, v113, v112
	v_add_co_ci_u32_e64 v117, null, 0, v117, vcc_lo
	v_sub_nc_u32_e32 v43, v117, v118
	s_delay_alu instid0(VALU_DEP_3)
	v_cmpx_lt_i32_e32 15, v34
	s_cbranch_execz .LBB2_352
; %bb.349:                              ;   in Loop: Header=BB2_268 Depth=4
	v_add_nc_u32_e32 v112, v112, v119
	s_mov_b32 s45, 0
	s_delay_alu instid0(VALU_DEP_1)
	v_ashrrev_i32_e32 v113, 31, v112
.LBB2_350:                              ;   Parent Loop BB2_53 Depth=1
                                        ;     Parent Loop BB2_89 Depth=2
                                        ;       Parent Loop BB2_265 Depth=3
                                        ;         Parent Loop BB2_268 Depth=4
                                        ; =>        This Inner Loop Header: Depth=5
	s_delay_alu instid0(VALU_DEP_1) | instskip(SKIP_4) | instid1(VALU_DEP_4)
	v_add_nc_u64_e32 v[44:45], v[100:101], v[112:113]
	v_sub_nc_u32_e32 v34, v34, v52
	v_add_nc_u64_e32 v[60:61], v[102:103], v[112:113]
	v_add_nc_u64_e32 v[112:113], v[112:113], v[52:53]
	v_sub_nc_u32_e32 v43, v43, v36
	v_cmp_gt_i32_e64 s10, 16, v34
	global_load_b128 v[44:47], v[44:45], off th:TH_LOAD_NT
	s_or_b32 s45, s10, s45
	s_wait_loadcnt 0x0
	global_store_b128 v[60:61], v[44:47], off th:TH_STORE_NT
	s_wait_xcnt 0x0
	s_and_not1_b32 exec_lo, exec_lo, s45
	s_cbranch_execnz .LBB2_350
; %bb.351:                              ;   in Loop: Header=BB2_268 Depth=4
	s_or_b32 exec_lo, exec_lo, s45
.LBB2_352:                              ;   in Loop: Header=BB2_268 Depth=4
	s_delay_alu instid0(SALU_CYCLE_1) | instskip(SKIP_3) | instid1(VALU_DEP_1)
	s_or_b32 exec_lo, exec_lo, s44
	v_dual_mov_b32 v34, 0 :: v_dual_bitop2_b32 v113, 15, v9 bitop3:0x40
	s_mov_b32 s44, 0
	s_mov_b32 s45, exec_lo
                                        ; implicit-def: $vgpr118
                                        ; implicit-def: $vgpr112
	v_cndmask_b32_e32 v117, v42, v113, vcc_lo
	s_delay_alu instid0(VALU_DEP_1)
	v_cmpx_ne_u32_e32 0, v117
	s_cbranch_execz .LBB2_354
; %bb.353:                              ;   in Loop: Header=BB2_268 Depth=4
	v_cmp_lt_i32_e64 s10, 0, v43
	s_mov_b32 s44, exec_lo
	v_dual_sub_nc_u32 v112, v42, v113 :: v_dual_cndmask_b32 v34, 0, v36, s10
	s_delay_alu instid0(VALU_DEP_1) | instskip(NEXT) | instid1(VALU_DEP_1)
	v_dual_cndmask_b32 v112, 0, v112, vcc_lo :: v_dual_sub_nc_u32 v34, v34, v43
	v_lshl_add_u32 v118, v34, 5, v41
	s_delay_alu instid0(VALU_DEP_1) | instskip(NEXT) | instid1(VALU_DEP_1)
	v_ashrrev_i32_e32 v34, 31, v118
	v_lshrrev_b32_e32 v34, 27, v34
	s_delay_alu instid0(VALU_DEP_1) | instskip(SKIP_1) | instid1(VALU_DEP_2)
	v_add_nc_u32_e32 v113, v118, v34
	v_add3_u32 v34, v40, v119, v112
	v_ashrrev_i32_e32 v112, 5, v113
.LBB2_354:                              ;   in Loop: Header=BB2_268 Depth=4
	s_or_b32 exec_lo, exec_lo, s45
	s_delay_alu instid0(SALU_CYCLE_1)
	s_and_b32 s44, s44, exec_lo
.LBB2_355:                              ;   in Loop: Header=BB2_268 Depth=4
	s_or_b32 exec_lo, exec_lo, s43
	s_and_saveexec_b32 s10, s44
	s_cbranch_execz .LBB2_364
.LBB2_356:                              ;   in Loop: Header=BB2_268 Depth=4
	v_ashrrev_i32_e32 v113, 31, v117
	s_mov_b32 s43, exec_lo
	s_delay_alu instid0(VALU_DEP_1) | instskip(NEXT) | instid1(VALU_DEP_1)
	v_lshrrev_b32_e32 v113, 24, v113
	v_add_nc_u32_e32 v113, v117, v113
	s_delay_alu instid0(VALU_DEP_1) | instskip(NEXT) | instid1(VALU_DEP_1)
	v_dual_ashrrev_i32 v41, 8, v113 :: v_dual_ashrrev_i32 v113, 31, v118
	v_dual_sub_nc_u32 v119, v41, v112 :: v_dual_lshrrev_b32 v40, 27, v113
	s_delay_alu instid0(VALU_DEP_1)
	v_cmpx_lt_i32_e32 0, v119
	s_cbranch_execz .LBB2_360
; %bb.357:                              ;   in Loop: Header=BB2_268 Depth=4
	s_delay_alu instid0(VALU_DEP_2) | instskip(SKIP_2) | instid1(VALU_DEP_2)
	v_add_nc_u32_e32 v113, v118, v40
	s_mov_b32 s44, 0
	v_lshlrev_b32_e32 v112, 8, v112
	v_and_b32_e32 v113, 0xffffffe0, v113
	s_delay_alu instid0(VALU_DEP_1) | instskip(NEXT) | instid1(VALU_DEP_1)
	v_sub_nc_u32_e32 v113, v118, v113
	v_add3_u32 v112, v34, v113, v112
	s_delay_alu instid0(VALU_DEP_1)
	v_ashrrev_i32_e32 v113, 31, v112
.LBB2_358:                              ;   Parent Loop BB2_53 Depth=1
                                        ;     Parent Loop BB2_89 Depth=2
                                        ;       Parent Loop BB2_265 Depth=3
                                        ;         Parent Loop BB2_268 Depth=4
                                        ; =>        This Inner Loop Header: Depth=5
	s_delay_alu instid0(VALU_DEP_1)
	v_add_nc_u64_e32 v[42:43], v[112:113], v[100:101]
	v_sub_nc_u32_e32 v119, v119, v36
	v_add_nc_u64_e32 v[100:101], v[100:101], v[54:55]
	s_clause 0x7
	flat_load_u8 v44, v[42:43] th:TH_LOAD_NT
	flat_load_u8 v45, v[42:43] offset:32 th:TH_LOAD_NT
	flat_load_u8 v46, v[42:43] offset:64 th:TH_LOAD_NT
	flat_load_u8 v47, v[42:43] offset:96 th:TH_LOAD_NT
	flat_load_u8 v60, v[42:43] offset:128 th:TH_LOAD_NT
	flat_load_u8 v61, v[42:43] offset:160 th:TH_LOAD_NT
	flat_load_u8 v62, v[42:43] offset:192 th:TH_LOAD_NT
	flat_load_u8 v63, v[42:43] offset:224 th:TH_LOAD_NT
	s_wait_xcnt 0x0
	v_add_nc_u64_e32 v[42:43], v[112:113], v[102:103]
	v_add_nc_u64_e32 v[102:103], v[102:103], v[54:55]
	v_cmp_gt_i32_e32 vcc_lo, 1, v119
	s_wait_loadcnt_dscnt 0x707
	flat_store_b8 v[42:43], v44 th:TH_STORE_NT
	s_wait_loadcnt_dscnt 0x607
	flat_store_b8 v[42:43], v45 offset:32 th:TH_STORE_NT
	s_wait_loadcnt_dscnt 0x507
	flat_store_b8 v[42:43], v46 offset:64 th:TH_STORE_NT
	s_wait_loadcnt_dscnt 0x407
	flat_store_b8 v[42:43], v47 offset:96 th:TH_STORE_NT
	s_wait_loadcnt_dscnt 0x307
	flat_store_b8 v[42:43], v60 offset:128 th:TH_STORE_NT
	s_wait_loadcnt_dscnt 0x207
	flat_store_b8 v[42:43], v61 offset:160 th:TH_STORE_NT
	s_wait_loadcnt_dscnt 0x107
	flat_store_b8 v[42:43], v62 offset:192 th:TH_STORE_NT
	s_wait_loadcnt_dscnt 0x7
	flat_store_b8 v[42:43], v63 offset:224 th:TH_STORE_NT
	s_or_b32 s44, vcc_lo, s44
	s_wait_xcnt 0x0
	s_and_not1_b32 exec_lo, exec_lo, s44
	s_cbranch_execnz .LBB2_358
; %bb.359:                              ;   in Loop: Header=BB2_268 Depth=4
	s_or_b32 exec_lo, exec_lo, s44
.LBB2_360:                              ;   in Loop: Header=BB2_268 Depth=4
	s_delay_alu instid0(SALU_CYCLE_1) | instskip(SKIP_1) | instid1(VALU_DEP_1)
	s_or_b32 exec_lo, exec_lo, s43
	v_lshlrev_b32_e32 v100, 8, v41
	v_cmp_ne_u32_e32 vcc_lo, v117, v100
	s_and_b32 exec_lo, exec_lo, vcc_lo
	s_cbranch_execz .LBB2_364
; %bb.361:                              ;   in Loop: Header=BB2_268 Depth=4
	v_dual_add_nc_u32 v101, v118, v40 :: v_dual_lshlrev_b32 v102, 5, v119
	s_delay_alu instid0(VALU_DEP_1) | instskip(NEXT) | instid1(VALU_DEP_1)
	v_and_b32_e32 v101, 0xffffffe0, v101
	v_sub_nc_u32_e32 v101, v118, v101
	s_delay_alu instid0(VALU_DEP_1) | instskip(NEXT) | instid1(VALU_DEP_1)
	v_sub_nc_u32_e32 v101, v101, v102
	v_add_nc_u32_e32 v102, v100, v101
	s_delay_alu instid0(VALU_DEP_1) | instskip(NEXT) | instid1(VALU_DEP_1)
	v_sub_nc_u32_e32 v112, v117, v102
	v_cmp_lt_i32_e32 vcc_lo, 0, v112
	s_and_b32 exec_lo, exec_lo, vcc_lo
	s_cbranch_execz .LBB2_364
; %bb.362:                              ;   in Loop: Header=BB2_268 Depth=4
	s_trap 2
	ds_load_b64 v[100:101], v0
	v_add_nc_u32_e32 v102, v102, v34
	s_mov_b32 s43, 0
	s_delay_alu instid0(VALU_DEP_1)
	v_ashrrev_i32_e32 v103, 31, v102
.LBB2_363:                              ;   Parent Loop BB2_53 Depth=1
                                        ;     Parent Loop BB2_89 Depth=2
                                        ;       Parent Loop BB2_265 Depth=3
                                        ;         Parent Loop BB2_268 Depth=4
                                        ; =>        This Inner Loop Header: Depth=5
	s_wait_dscnt 0x0
	s_delay_alu instid0(VALU_DEP_1) | instskip(SKIP_2) | instid1(VALU_DEP_2)
	v_add_nc_u64_e32 v[118:119], v[100:101], v[102:103]
	v_sub_nc_u32_e32 v112, v112, v38
	v_add_nc_u64_e32 v[102:103], v[102:103], v[38:39]
	v_cmp_gt_i32_e32 vcc_lo, 1, v112
	flat_load_u8 v34, v[118:119] th:TH_LOAD_NT
	s_or_b32 s43, vcc_lo, s43
	s_wait_loadcnt_dscnt 0x0
	flat_store_b8 v[118:119], v34 th:TH_STORE_NT
	s_wait_xcnt 0x0
	s_and_not1_b32 exec_lo, exec_lo, s43
	s_cbranch_execnz .LBB2_363
.LBB2_364:                              ;   in Loop: Header=BB2_268 Depth=4
	s_or_b32 exec_lo, exec_lo, s10
	v_cmp_lt_i32_e64 s10, 0, v9
	s_and_saveexec_b32 s43, s1
	s_cbranch_execz .LBB2_383
.LBB2_365:                              ;   in Loop: Header=BB2_268 Depth=4
	s_and_saveexec_b32 s44, s2
	s_delay_alu instid0(SALU_CYCLE_1)
	s_xor_b32 s44, exec_lo, s44
	s_cbranch_execz .LBB2_380
; %bb.366:                              ;   in Loop: Header=BB2_268 Depth=4
	s_and_saveexec_b32 s45, s5
	s_cbranch_execz .LBB2_379
; %bb.367:                              ;   in Loop: Header=BB2_268 Depth=4
	s_mov_b32 s47, exec_lo
	s_mov_b32 s46, exec_lo
	v_mbcnt_lo_u32_b32 v9, s47, 0
	global_wb scope:SCOPE_DEV
	s_wait_storecnt 0x0
	s_wait_loadcnt_dscnt 0x0
	global_inv scope:SCOPE_DEV
	v_cmpx_eq_u32_e32 0, v9
	s_cbranch_execz .LBB2_369
; %bb.368:                              ;   in Loop: Header=BB2_268 Depth=4
	s_bcnt1_i32_b32 s47, s47
	s_delay_alu instid0(SALU_CYCLE_1)
	v_mov_b32_e32 v34, s47
	s_wait_loadcnt 0x0
	ds_add_u64 v0, v[34:35]
	s_trap 2
.LBB2_369:                              ;   in Loop: Header=BB2_268 Depth=4
	s_or_b32 exec_lo, exec_lo, s46
	s_trap 2
	ds_load_b64 v[100:101], v0
	s_wait_dscnt 0x0
	v_add_nc_u64_e32 v[10:11], v[10:11], v[36:37]
	s_mov_b32 s46, exec_lo
	s_delay_alu instid0(VALU_DEP_1)
	v_cmpx_lt_u64_e64 v[100:101], v[10:11]
	s_cbranch_execz .LBB2_378
; %bb.370:                              ;   in Loop: Header=BB2_268 Depth=4
	s_mov_b32 s47, 0
	s_mov_b32 s58, 0
                                        ; implicit-def: $sgpr56
                                        ; implicit-def: $sgpr57
	s_branch .LBB2_372
.LBB2_371:                              ;   in Loop: Header=BB2_372 Depth=5
	s_or_b32 exec_lo, exec_lo, s60
	s_delay_alu instid0(SALU_CYCLE_1) | instskip(NEXT) | instid1(SALU_CYCLE_1)
	s_and_b32 s59, exec_lo, s61
	s_or_b32 s47, s59, s47
	s_and_not1_b32 s56, s56, exec_lo
	s_and_b32 s59, s57, exec_lo
	s_delay_alu instid0(SALU_CYCLE_1)
	s_or_b32 s56, s56, s59
	s_and_not1_b32 exec_lo, exec_lo, s47
	s_cbranch_execz .LBB2_376
.LBB2_372:                              ;   Parent Loop BB2_53 Depth=1
                                        ;     Parent Loop BB2_89 Depth=2
                                        ;       Parent Loop BB2_265 Depth=3
                                        ;         Parent Loop BB2_268 Depth=4
                                        ; =>        This Inner Loop Header: Depth=5
	s_add_co_i32 s58, s58, 1
	s_delay_alu instid0(SALU_CYCLE_1) | instskip(SKIP_1) | instid1(SALU_CYCLE_1)
	s_cmp_lg_u32 s58, 0x2710
	s_cselect_b32 s59, -1, 0
	s_and_b32 vcc_lo, exec_lo, s59
	s_cbranch_vccz .LBB2_374
; %bb.373:                              ;   in Loop: Header=BB2_372 Depth=5
	s_mov_b32 s61, -1
	s_or_b32 s57, s57, exec_lo
	s_and_saveexec_b32 s60, s59
	s_cbranch_execz .LBB2_371
	s_branch .LBB2_375
.LBB2_374:                              ;   in Loop: Header=BB2_372 Depth=5
	s_trap 2
	ds_load_b64 v[100:101], v0
	s_and_not1_b32 s59, s59, exec_lo
	s_mov_b32 s58, 0
	s_wait_loadcnt_dscnt 0x0
	flat_load_b32 v9, v[100:101] scope:SCOPE_SYS
	s_wait_loadcnt_dscnt 0x0
	global_inv scope:SCOPE_SYS
	v_cmp_eq_u32_e32 vcc_lo, 0, v9
	s_and_b32 s60, vcc_lo, exec_lo
	s_delay_alu instid0(SALU_CYCLE_1)
	s_or_b32 s59, s59, s60
	s_mov_b32 s61, -1
	s_or_b32 s57, s57, exec_lo
	s_and_saveexec_b32 s60, s59
	s_cbranch_execz .LBB2_371
.LBB2_375:                              ;   in Loop: Header=BB2_372 Depth=5
	s_sleep 1
	s_trap 2
	ds_load_b64 v[100:101], v0
	s_wait_dscnt 0x0
	s_and_not1_b32 s57, s57, exec_lo
	v_cmp_ge_u64_e32 vcc_lo, v[100:101], v[10:11]
	s_or_not1_b32 s61, vcc_lo, exec_lo
	s_branch .LBB2_371
.LBB2_376:                              ;   in Loop: Header=BB2_268 Depth=4
	s_or_b32 exec_lo, exec_lo, s47
	s_and_saveexec_b32 s47, s56
	s_delay_alu instid0(SALU_CYCLE_1)
	s_xor_b32 s47, exec_lo, s47
	s_cbranch_execz .LBB2_378
; %bb.377:                              ;   in Loop: Header=BB2_268 Depth=4
	ds_store_b32 v0, v57
	s_trap 2
.LBB2_378:                              ;   in Loop: Header=BB2_268 Depth=4
	s_or_b32 exec_lo, exec_lo, s46
	;;#ASMSTART
	s_wakeup
	;;#ASMEND
.LBB2_379:                              ;   in Loop: Header=BB2_268 Depth=4
	s_or_b32 exec_lo, exec_lo, s45
.LBB2_380:                              ;   in Loop: Header=BB2_268 Depth=4
	s_and_not1_saveexec_b32 s44, s44
	s_cbranch_execz .LBB2_382
; %bb.381:                              ;   in Loop: Header=BB2_268 Depth=4
	global_wb scope:SCOPE_DEV
	s_wait_storecnt 0x0
	s_wait_loadcnt_dscnt 0x0
	global_inv scope:SCOPE_DEV
	s_barrier_signal -1
	s_barrier_wait -1
.LBB2_382:                              ;   in Loop: Header=BB2_268 Depth=4
	s_or_b32 exec_lo, exec_lo, s44
.LBB2_383:                              ;   in Loop: Header=BB2_268 Depth=4
	s_delay_alu instid0(SALU_CYCLE_1) | instskip(SKIP_1) | instid1(VALU_DEP_1)
	s_or_b32 exec_lo, exec_lo, s43
	v_and_b32_e32 v9, 16, v82
	v_cmp_ne_u32_e32 vcc_lo, 0, v9
	s_and_b32 s43, vcc_lo, s10
	s_delay_alu instid0(SALU_CYCLE_1)
	s_and_saveexec_b32 s10, s43
	s_cbranch_execz .LBB2_385
; %bb.384:                              ;   in Loop: Header=BB2_268 Depth=4
	global_wb scope:SCOPE_SYS
	s_wait_storecnt 0x0
	s_wait_loadcnt_dscnt 0x0
	global_inv scope:SCOPE_SYS
.LBB2_385:                              ;   in Loop: Header=BB2_268 Depth=4
	s_or_b32 exec_lo, exec_lo, s10
	v_cmp_ne_u32_e32 vcc_lo, 0, v9
	s_xor_b32 s10, s3, -1
	s_delay_alu instid0(SALU_CYCLE_1) | instskip(NEXT) | instid1(SALU_CYCLE_1)
	s_and_b32 s43, vcc_lo, s10
	s_and_saveexec_b32 s10, s43
	s_cbranch_execz .LBB2_387
; %bb.386:                              ;   in Loop: Header=BB2_268 Depth=4
	global_wb scope:SCOPE_SYS
	s_wait_storecnt 0x0
	s_wait_loadcnt_dscnt 0x0
	flat_store_b32 v[24:25], v57 scope:SCOPE_SYS
.LBB2_387:                              ;   in Loop: Header=BB2_268 Depth=4
	s_wait_xcnt 0x0
	s_or_b32 exec_lo, exec_lo, s10
	v_and_b32_e32 v9, 48, v82
	s_mov_b32 s10, exec_lo
	s_delay_alu instid0(VALU_DEP_1)
	v_cmpx_ne_u32_e32 0, v9
	s_cbranch_execz .LBB2_267
; %bb.388:                              ;   in Loop: Header=BB2_268 Depth=4
	v_add_nc_u64_e32 v[84:85], 2, v[84:85]
	global_wb scope:SCOPE_SYS
	s_wait_storecnt 0x0
	s_wait_loadcnt_dscnt 0x0
	flat_store_b64 v[18:19], v[84:85] scope:SCOPE_SYS
	s_branch .LBB2_267
.LBB2_389:                              ;   in Loop: Header=BB2_265 Depth=3
	s_or_b32 exec_lo, exec_lo, s40
.LBB2_390:                              ;   in Loop: Header=BB2_265 Depth=3
	s_delay_alu instid0(SALU_CYCLE_1) | instskip(NEXT) | instid1(SALU_CYCLE_1)
	s_or_b32 exec_lo, exec_lo, s29
	s_mov_b32 s29, exec_lo
	v_cmpx_gt_i32_e32 2, v9
	s_cbranch_execz .LBB2_264
; %bb.391:                              ;   in Loop: Header=BB2_265 Depth=3
	v_cmp_eq_u32_e64 s41, 0, v9
	s_mov_b32 s40, 0
	s_branch .LBB2_393
.LBB2_392:                              ;   in Loop: Header=BB2_393 Depth=4
	s_wait_xcnt 0x0
	s_or_b32 exec_lo, exec_lo, s10
	v_add_nc_u32_e32 v116, v8, v116
	s_mov_b32 s41, 0
	s_and_not1_b32 exec_lo, exec_lo, s40
	s_cbranch_execz .LBB2_263
.LBB2_393:                              ;   Parent Loop BB2_53 Depth=1
                                        ;     Parent Loop BB2_89 Depth=2
                                        ;       Parent Loop BB2_265 Depth=3
                                        ; =>      This Loop Header: Depth=4
                                        ;           Child Loop BB2_399 Depth 5
                                        ;           Child Loop BB2_427 Depth 5
	s_delay_alu instid0(VALU_DEP_1) | instskip(SKIP_1) | instid1(VALU_DEP_1)
	v_dual_sub_nc_u32 v9, v114, v116 :: v_dual_bitop2_b32 v34, 12, v82 bitop3:0x40
	s_mov_b32 s42, exec_lo
	v_min_i32_e32 v8, v8, v9
	s_delay_alu instid0(VALU_DEP_2)
	v_cmpx_ne_u32_e32 0, v34
	s_cbranch_execz .LBB2_419
; %bb.394:                              ;   in Loop: Header=BB2_393 Depth=4
	v_and_b32_e32 v34, 8, v82
	v_add_nc_u64_e32 v[100:101], 2, v[84:85]
	s_mov_b32 s43, exec_lo
	s_wait_loadcnt 0x0
	s_delay_alu instid0(VALU_DEP_2) | instskip(NEXT) | instid1(VALU_DEP_1)
	v_add_nc_u64_e32 v[102:103], v[26:27], v[34:35]
	v_cmpx_lt_u64_e64 v[102:103], v[100:101]
	s_cbranch_execz .LBB2_406
; %bb.395:                              ;   in Loop: Header=BB2_393 Depth=4
	v_and_b32_e32 v9, 64, v82
	s_mov_b32 s44, 0
	s_mov_b32 s56, 0
                                        ; implicit-def: $sgpr45
                                        ; implicit-def: $sgpr46
                                        ; implicit-def: $sgpr47
	s_delay_alu instid0(VALU_DEP_1)
	v_cmp_eq_u32_e32 vcc_lo, 0, v9
	s_branch .LBB2_399
.LBB2_396:                              ;   in Loop: Header=BB2_399 Depth=5
	s_wait_loadcnt_dscnt 0x0
	v_add_nc_u64_e32 v[102:103], v[26:27], v[34:35]
	s_or_b32 s59, s59, exec_lo
	s_delay_alu instid0(VALU_DEP_1)
	v_cmp_ge_u64_e64 s10, v[102:103], v[100:101]
	s_or_not1_b32 s58, s10, exec_lo
.LBB2_397:                              ;   in Loop: Header=BB2_399 Depth=5
	s_or_b32 exec_lo, exec_lo, s61
	s_delay_alu instid0(SALU_CYCLE_1)
	s_and_not1_b32 s10, s47, exec_lo
	s_and_b32 s47, s59, exec_lo
	s_and_not1_b32 s46, s46, exec_lo
	s_and_b32 s58, s58, exec_lo
	s_or_b32 s47, s10, s47
	s_or_b32 s46, s46, s58
.LBB2_398:                              ;   in Loop: Header=BB2_399 Depth=5
	s_or_b32 exec_lo, exec_lo, s57
	s_delay_alu instid0(SALU_CYCLE_1) | instskip(NEXT) | instid1(SALU_CYCLE_1)
	s_and_b32 s10, exec_lo, s46
	s_or_b32 s44, s10, s44
	s_and_not1_b32 s10, s45, exec_lo
	s_and_b32 s45, s47, exec_lo
	s_delay_alu instid0(SALU_CYCLE_1)
	s_or_b32 s45, s10, s45
	s_and_not1_b32 exec_lo, exec_lo, s44
	s_cbranch_execz .LBB2_403
.LBB2_399:                              ;   Parent Loop BB2_53 Depth=1
                                        ;     Parent Loop BB2_89 Depth=2
                                        ;       Parent Loop BB2_265 Depth=3
                                        ;         Parent Loop BB2_393 Depth=4
                                        ; =>        This Inner Loop Header: Depth=5
	s_sleep 1
	s_wait_loadcnt_dscnt 0x0
	flat_load_b64 v[26:27], v[18:19] scope:SCOPE_SYS
	s_or_b32 s47, s47, exec_lo
	s_or_b32 s46, s46, exec_lo
                                        ; implicit-def: $vgpr9
	s_wait_xcnt 0x0
	s_and_saveexec_b32 s57, vcc_lo
	s_cbranch_execz .LBB2_398
; %bb.400:                              ;   in Loop: Header=BB2_399 Depth=5
	s_cmp_lt_i32 s56, 0x270f
	s_mov_b32 s58, -1
	s_cselect_b32 s60, -1, 0
	s_cmp_gt_i32 s56, 0x270e
	s_cbranch_scc0 .LBB2_402
; %bb.401:                              ;   in Loop: Header=BB2_399 Depth=5
	s_trap 2
	ds_load_b64 v[102:103], v0
	s_and_not1_b32 s56, s60, exec_lo
	s_mov_b32 s59, 0
	s_wait_storecnt 0x0
	s_wait_loadcnt_dscnt 0x0
	flat_load_b32 v9, v[102:103] scope:SCOPE_SYS
	s_wait_loadcnt_dscnt 0x0
	global_inv scope:SCOPE_SYS
	v_cmp_eq_u32_e64 s10, 0, v9
	s_and_b32 s10, s10, exec_lo
	s_delay_alu instid0(SALU_CYCLE_1)
	s_or_b32 s60, s56, s10
	s_mov_b32 s56, 0
	s_and_saveexec_b32 s61, s60
	s_cbranch_execz .LBB2_397
	s_branch .LBB2_396
.LBB2_402:                              ;   in Loop: Header=BB2_399 Depth=5
	s_add_co_i32 s56, s56, 1
	s_mov_b32 s59, -1
                                        ; implicit-def: $vgpr9
	s_and_saveexec_b32 s61, s60
	s_cbranch_execz .LBB2_397
	s_branch .LBB2_396
.LBB2_403:                              ;   in Loop: Header=BB2_393 Depth=4
	s_or_b32 exec_lo, exec_lo, s44
	s_xor_b32 s10, s45, -1
	s_delay_alu instid0(SALU_CYCLE_1) | instskip(NEXT) | instid1(SALU_CYCLE_1)
	s_and_saveexec_b32 s44, s10
	s_xor_b32 s10, exec_lo, s44
	s_cbranch_execz .LBB2_405
; %bb.404:                              ;   in Loop: Header=BB2_393 Depth=4
	v_or_b32_e32 v82, 64, v82
	s_wait_storecnt 0x0
	s_wait_loadcnt_dscnt 0x0
	ds_store_b32 v0, v9
	s_trap 2
.LBB2_405:                              ;   in Loop: Header=BB2_393 Depth=4
	s_or_b32 exec_lo, exec_lo, s10
.LBB2_406:                              ;   in Loop: Header=BB2_393 Depth=4
	s_delay_alu instid0(SALU_CYCLE_1) | instskip(SKIP_4) | instid1(VALU_DEP_2)
	s_or_b32 exec_lo, exec_lo, s43
	v_and_b32_e32 v9, 0x108, v82
	v_and_b32_e32 v84, 7, v84
	s_mov_b32 s10, exec_lo
	;;#ASMSTART
	s_wakeup
	;;#ASMEND
	v_cmpx_ne_u32_e32 0x108, v9
	s_xor_b32 s10, exec_lo, s10
; %bb.407:                              ;   in Loop: Header=BB2_393 Depth=4
	v_mov_b32_e32 v85, v35
; %bb.408:                              ;   in Loop: Header=BB2_393 Depth=4
	s_and_not1_saveexec_b32 s10, s10
	s_cbranch_execz .LBB2_410
; %bb.409:                              ;   in Loop: Header=BB2_393 Depth=4
	v_mad_nc_u64_u32 v[102:103], v84, 24, v[4:5]
	v_dual_ashrrev_i32 v9, 31, v8 :: v_dual_mov_b32 v85, v35
	flat_store_b64 v[102:103], v[8:9] offset:8
.LBB2_410:                              ;   in Loop: Header=BB2_393 Depth=4
	s_wait_xcnt 0x0
	s_or_b32 exec_lo, exec_lo, s10
	v_and_b32_e32 v9, 0x100, v82
	s_mov_b32 s10, -1
	s_mov_b32 s43, exec_lo
                                        ; implicit-def: $vgpr102_vgpr103
	s_delay_alu instid0(VALU_DEP_1)
	v_cmpx_ne_u32_e32 0, v9
	s_cbranch_execz .LBB2_414
; %bb.411:                              ;   in Loop: Header=BB2_393 Depth=4
	v_mad_nc_u64_u32 v[112:113], v84, 24, v[4:5]
	s_mov_b32 s44, exec_lo
                                        ; implicit-def: $vgpr102_vgpr103
	s_delay_alu instid0(VALU_DEP_1)
	v_mad_u32 v113, v85, 24, v113
	flat_load_b32 v9, v[112:113]
	s_wait_loadcnt_dscnt 0x0
	v_cmp_ne_u32_e32 vcc_lo, 1, v9
	s_wait_xcnt 0x0
	v_cmpx_eq_u32_e32 1, v9
	s_cbranch_execz .LBB2_413
; %bb.412:                              ;   in Loop: Header=BB2_393 Depth=4
	flat_load_b32 v102, v[112:113] offset:4 scope:SCOPE_SYS
	s_wait_loadcnt_dscnt 0x0
	v_ashrrev_i32_e32 v103, 31, v102
.LBB2_413:                              ;   in Loop: Header=BB2_393 Depth=4
	s_wait_xcnt 0x0
	s_or_b32 exec_lo, exec_lo, s44
	s_delay_alu instid0(SALU_CYCLE_1)
	s_or_not1_b32 s10, vcc_lo, exec_lo
.LBB2_414:                              ;   in Loop: Header=BB2_393 Depth=4
	s_or_b32 exec_lo, exec_lo, s43
	s_and_saveexec_b32 s43, s10
; %bb.415:                              ;   in Loop: Header=BB2_393 Depth=4
	v_mul_u64_e32 v[102:103], v[84:85], v[20:21]
; %bb.416:                              ;   in Loop: Header=BB2_393 Depth=4
	s_or_b32 exec_lo, exec_lo, s43
	v_cmp_eq_u32_e32 vcc_lo, 0, v34
	s_delay_alu instid0(VALU_DEP_2) | instskip(SKIP_3) | instid1(VALU_DEP_1)
	v_add_nc_u64_e32 v[84:85], v[22:23], v[102:103]
	v_and_b32_e32 v34, 0x2000, v82
	s_mov_b32 s10, exec_lo
	v_cndmask_b32_e32 v9, 0xc8, v59, vcc_lo
	v_add_nc_u32_e32 v9, v0, v9
	ds_store_b64 v9, v[84:85] offset:584
	v_cmpx_ne_u32_e32 0, v34
	s_cbranch_execz .LBB2_418
; %bb.417:                              ;   in Loop: Header=BB2_393 Depth=4
	ds_load_b64 v[84:85], v0 offset:872
	s_wait_dscnt 0x0
	v_add_nc_u64_e32 v[84:85], 1, v[84:85]
	ds_store_b64 v0, v[84:85] offset:872
.LBB2_418:                              ;   in Loop: Header=BB2_393 Depth=4
	s_or_b32 exec_lo, exec_lo, s10
	v_mov_b64_e32 v[84:85], v[100:101]
.LBB2_419:                              ;   in Loop: Header=BB2_393 Depth=4
	s_or_b32 exec_lo, exec_lo, s42
	s_xor_b32 s10, s41, -1
	s_delay_alu instid0(SALU_CYCLE_1) | instskip(NEXT) | instid1(SALU_CYCLE_1)
	s_and_b32 s10, exec_lo, s10
	s_or_b32 s40, s10, s40
	s_and_saveexec_b32 s10, s1
	s_cbranch_execz .LBB2_438
; %bb.420:                              ;   in Loop: Header=BB2_393 Depth=4
	s_and_saveexec_b32 s41, s2
	s_delay_alu instid0(SALU_CYCLE_1)
	s_xor_b32 s41, exec_lo, s41
	s_cbranch_execz .LBB2_435
; %bb.421:                              ;   in Loop: Header=BB2_393 Depth=4
	s_and_saveexec_b32 s42, s5
	s_cbranch_execz .LBB2_434
; %bb.422:                              ;   in Loop: Header=BB2_393 Depth=4
	s_mov_b32 s44, exec_lo
	s_mov_b32 s43, exec_lo
	v_mbcnt_lo_u32_b32 v9, s44, 0
	global_wb scope:SCOPE_DEV
	s_wait_storecnt 0x0
	s_wait_loadcnt_dscnt 0x0
	global_inv scope:SCOPE_DEV
	v_cmpx_eq_u32_e32 0, v9
	s_cbranch_execz .LBB2_424
; %bb.423:                              ;   in Loop: Header=BB2_393 Depth=4
	s_bcnt1_i32_b32 s44, s44
	s_delay_alu instid0(SALU_CYCLE_1)
	v_mov_b32_e32 v34, s44
	s_wait_loadcnt 0x0
	ds_add_u64 v0, v[34:35]
	s_trap 2
.LBB2_424:                              ;   in Loop: Header=BB2_393 Depth=4
	s_or_b32 exec_lo, exec_lo, s43
	s_trap 2
	ds_load_b64 v[100:101], v0
	s_wait_dscnt 0x0
	v_add_nc_u64_e32 v[10:11], v[10:11], v[36:37]
	s_mov_b32 s43, exec_lo
	s_delay_alu instid0(VALU_DEP_1)
	v_cmpx_lt_u64_e64 v[100:101], v[10:11]
	s_cbranch_execz .LBB2_433
; %bb.425:                              ;   in Loop: Header=BB2_393 Depth=4
	s_mov_b32 s44, 0
	s_mov_b32 s47, 0
                                        ; implicit-def: $sgpr45
                                        ; implicit-def: $sgpr46
	s_branch .LBB2_427
.LBB2_426:                              ;   in Loop: Header=BB2_427 Depth=5
	s_or_b32 exec_lo, exec_lo, s57
	s_delay_alu instid0(SALU_CYCLE_1) | instskip(NEXT) | instid1(SALU_CYCLE_1)
	s_and_b32 s56, exec_lo, s58
	s_or_b32 s44, s56, s44
	s_and_not1_b32 s45, s45, exec_lo
	s_and_b32 s56, s46, exec_lo
	s_delay_alu instid0(SALU_CYCLE_1)
	s_or_b32 s45, s45, s56
	s_and_not1_b32 exec_lo, exec_lo, s44
	s_cbranch_execz .LBB2_431
.LBB2_427:                              ;   Parent Loop BB2_53 Depth=1
                                        ;     Parent Loop BB2_89 Depth=2
                                        ;       Parent Loop BB2_265 Depth=3
                                        ;         Parent Loop BB2_393 Depth=4
                                        ; =>        This Inner Loop Header: Depth=5
	s_add_co_i32 s47, s47, 1
	s_delay_alu instid0(SALU_CYCLE_1) | instskip(SKIP_1) | instid1(SALU_CYCLE_1)
	s_cmp_lg_u32 s47, 0x2710
	s_cselect_b32 s56, -1, 0
	s_and_b32 vcc_lo, exec_lo, s56
	s_cbranch_vccz .LBB2_429
; %bb.428:                              ;   in Loop: Header=BB2_427 Depth=5
	s_mov_b32 s58, -1
	s_or_b32 s46, s46, exec_lo
	s_and_saveexec_b32 s57, s56
	s_cbranch_execz .LBB2_426
	s_branch .LBB2_430
.LBB2_429:                              ;   in Loop: Header=BB2_427 Depth=5
	s_trap 2
	ds_load_b64 v[100:101], v0
	s_and_not1_b32 s56, s56, exec_lo
	s_mov_b32 s47, 0
	s_wait_loadcnt_dscnt 0x0
	flat_load_b32 v9, v[100:101] scope:SCOPE_SYS
	s_wait_loadcnt_dscnt 0x0
	global_inv scope:SCOPE_SYS
	v_cmp_eq_u32_e32 vcc_lo, 0, v9
	s_and_b32 s57, vcc_lo, exec_lo
	s_delay_alu instid0(SALU_CYCLE_1)
	s_or_b32 s56, s56, s57
	s_mov_b32 s58, -1
	s_or_b32 s46, s46, exec_lo
	s_and_saveexec_b32 s57, s56
	s_cbranch_execz .LBB2_426
.LBB2_430:                              ;   in Loop: Header=BB2_427 Depth=5
	s_sleep 1
	s_trap 2
	ds_load_b64 v[100:101], v0
	s_wait_dscnt 0x0
	s_and_not1_b32 s46, s46, exec_lo
	v_cmp_ge_u64_e32 vcc_lo, v[100:101], v[10:11]
	s_or_not1_b32 s58, vcc_lo, exec_lo
	s_branch .LBB2_426
.LBB2_431:                              ;   in Loop: Header=BB2_393 Depth=4
	s_or_b32 exec_lo, exec_lo, s44
	s_and_saveexec_b32 s44, s45
	s_delay_alu instid0(SALU_CYCLE_1)
	s_xor_b32 s44, exec_lo, s44
	s_cbranch_execz .LBB2_433
; %bb.432:                              ;   in Loop: Header=BB2_393 Depth=4
	ds_store_b32 v0, v57
	s_trap 2
.LBB2_433:                              ;   in Loop: Header=BB2_393 Depth=4
	s_or_b32 exec_lo, exec_lo, s43
	;;#ASMSTART
	s_wakeup
	;;#ASMEND
.LBB2_434:                              ;   in Loop: Header=BB2_393 Depth=4
	s_or_b32 exec_lo, exec_lo, s42
.LBB2_435:                              ;   in Loop: Header=BB2_393 Depth=4
	s_and_not1_saveexec_b32 s41, s41
	s_cbranch_execz .LBB2_437
; %bb.436:                              ;   in Loop: Header=BB2_393 Depth=4
	global_wb scope:SCOPE_DEV
	s_wait_storecnt 0x0
	s_wait_loadcnt_dscnt 0x0
	global_inv scope:SCOPE_DEV
	s_barrier_signal -1
	s_barrier_wait -1
.LBB2_437:                              ;   in Loop: Header=BB2_393 Depth=4
	s_or_b32 exec_lo, exec_lo, s41
.LBB2_438:                              ;   in Loop: Header=BB2_393 Depth=4
	s_delay_alu instid0(SALU_CYCLE_1)
	s_or_b32 exec_lo, exec_lo, s10
	s_trap 2
	ds_load_b32 v9, v0
	v_cmp_lt_i32_e32 vcc_lo, 0, v8
	s_wait_dscnt 0x0
	v_readfirstlane_b32 s10, v9
	v_and_b32_e32 v9, 16, v82
	s_cmp_eq_u32 s10, 0
	s_delay_alu instid0(VALU_DEP_1) | instskip(SKIP_1) | instid1(SALU_CYCLE_1)
	v_cmp_ne_u32_e64 s10, 0, v9
	s_cselect_b32 s41, -1, 0
	s_and_b32 s41, vcc_lo, s41
	s_delay_alu instid0(SALU_CYCLE_1) | instskip(NEXT) | instid1(SALU_CYCLE_1)
	s_and_b32 s41, s10, s41
	s_and_saveexec_b32 s10, s41
	s_cbranch_execz .LBB2_440
; %bb.439:                              ;   in Loop: Header=BB2_393 Depth=4
	global_wb scope:SCOPE_SYS
	s_wait_loadcnt 0x0
	s_wait_storecnt 0x0
	global_inv scope:SCOPE_SYS
.LBB2_440:                              ;   in Loop: Header=BB2_393 Depth=4
	s_or_b32 exec_lo, exec_lo, s10
	v_cmp_ne_u32_e32 vcc_lo, 0, v9
	s_xor_b32 s10, s3, -1
	s_delay_alu instid0(SALU_CYCLE_1) | instskip(NEXT) | instid1(SALU_CYCLE_1)
	s_and_b32 s41, vcc_lo, s10
	s_and_saveexec_b32 s10, s41
	s_cbranch_execz .LBB2_442
; %bb.441:                              ;   in Loop: Header=BB2_393 Depth=4
	global_wb scope:SCOPE_SYS
	s_wait_loadcnt 0x0
	s_wait_storecnt 0x0
	flat_store_b32 v[24:25], v57 scope:SCOPE_SYS
.LBB2_442:                              ;   in Loop: Header=BB2_393 Depth=4
	s_wait_xcnt 0x0
	s_or_b32 exec_lo, exec_lo, s10
	v_and_b32_e32 v9, 48, v82
	s_mov_b32 s10, exec_lo
	s_delay_alu instid0(VALU_DEP_1)
	v_cmpx_ne_u32_e32 0, v9
	s_cbranch_execz .LBB2_392
; %bb.443:                              ;   in Loop: Header=BB2_393 Depth=4
	v_add_nc_u64_e32 v[84:85], 2, v[84:85]
	global_wb scope:SCOPE_SYS
	s_wait_storecnt 0x0
	s_wait_loadcnt_dscnt 0x0
	flat_store_b64 v[18:19], v[84:85] scope:SCOPE_SYS
	s_branch .LBB2_392
.LBB2_444:                              ;   in Loop: Header=BB2_89 Depth=2
	v_add_nc_u64_e32 v[100:101], v[6:7], v[98:99]
	s_delay_alu instid0(VALU_DEP_1) | instskip(SKIP_1) | instid1(VALU_DEP_2)
	v_dual_mov_b32 v9, 0 :: v_dual_max_i32 v116, 0, v100
	v_cmp_lt_i32_e32 vcc_lo, 0, v100
	v_add_nc_u32_e32 v8, 31, v116
	s_and_b32 s10, s11, vcc_lo
	s_delay_alu instid0(VALU_DEP_1) | instskip(NEXT) | instid1(VALU_DEP_1)
	v_lshrrev_b32_e32 v8, 1, v8
	v_and_b32_e32 v8, 0x3ffffff0, v8
	s_delay_alu instid0(VALU_DEP_1)
	v_dual_mov_b32 v8, 0 :: v_dual_max_i32 v117, s21, v8
	s_and_saveexec_b32 s27, s10
	s_cbranch_execz .LBB2_563
; %bb.445:                              ;   in Loop: Header=BB2_89 Depth=2
	v_mov_b32_e32 v8, 0
	s_mov_b32 s40, 1
	s_mov_b32 s29, -1
	s_mov_b32 s28, 0
	s_branch .LBB2_447
.LBB2_446:                              ;   in Loop: Header=BB2_447 Depth=3
	s_wait_xcnt 0x0
	s_or_b32 exec_lo, exec_lo, s10
	v_dual_mov_b32 v9, s40 :: v_dual_add_nc_u32 v8, v117, v8
	s_xor_b32 s10, s29, -1
	s_mov_b32 s29, 0
	s_mov_b32 s40, 2
	s_delay_alu instid0(VALU_DEP_1) | instskip(SKIP_1) | instid1(SALU_CYCLE_1)
	v_cmp_ge_i32_e32 vcc_lo, v8, v116
	s_or_b32 s10, s10, vcc_lo
	s_and_b32 s10, exec_lo, s10
	s_delay_alu instid0(SALU_CYCLE_1) | instskip(NEXT) | instid1(SALU_CYCLE_1)
	s_or_b32 s28, s10, s28
	s_and_not1_b32 exec_lo, exec_lo, s28
	s_cbranch_execz .LBB2_562
.LBB2_447:                              ;   Parent Loop BB2_53 Depth=1
                                        ;     Parent Loop BB2_89 Depth=2
                                        ; =>    This Loop Header: Depth=3
                                        ;         Child Loop BB2_455 Depth 4
                                        ;         Child Loop BB2_479 Depth 4
	;; [unrolled: 1-line block ×8, first 2 shown]
	s_and_saveexec_b32 s10, s0
	s_cbranch_execz .LBB2_449
; %bb.448:                              ;   in Loop: Header=BB2_447 Depth=3
	s_trap 2
	ds_load_b128 v[112:115], v0
	s_wait_dscnt 0x0
	v_add_nc_u64_e32 v[102:103], v[114:115], v[100:101]
	v_cmp_ne_u64_e32 vcc_lo, 0, v[114:115]
	v_ashrrev_i32_e32 v9, 31, v8
	v_add_nc_u64_e32 v[112:113], v[112:113], v[100:101]
	s_delay_alu instid0(VALU_DEP_2) | instskip(NEXT) | instid1(VALU_DEP_1)
	v_add_nc_u64_e32 v[102:103], v[102:103], v[8:9]
	v_cndmask_b32_e32 v103, 0, v103, vcc_lo
	s_delay_alu instid0(VALU_DEP_3) | instskip(NEXT) | instid1(VALU_DEP_3)
	v_add_nc_u64_e32 v[112:113], v[112:113], v[8:9]
	v_cndmask_b32_e32 v102, 0, v102, vcc_lo
	ds_store_b64 v0, v[112:113]
	ds_store_b64 v0, v[102:103]
.LBB2_449:                              ;   in Loop: Header=BB2_447 Depth=3
	s_or_b32 exec_lo, exec_lo, s10
	v_and_b32_e32 v9, 4, v82
	s_mov_b32 s41, exec_lo
	s_delay_alu instid0(VALU_DEP_1)
	v_cmpx_ne_u32_e32 0, v9
	s_cbranch_execz .LBB2_471
; %bb.450:                              ;   in Loop: Header=BB2_447 Depth=3
	v_add_nc_u64_e32 v[102:103], 2, v[84:85]
	s_mov_b32 s42, exec_lo
	s_wait_loadcnt 0x0
	s_delay_alu instid0(VALU_DEP_1)
	v_cmpx_lt_u64_e64 v[26:27], v[102:103]
	s_cbranch_execz .LBB2_462
; %bb.451:                              ;   in Loop: Header=BB2_447 Depth=3
	v_and_b32_e32 v9, 64, v82
	s_mov_b32 s43, 0
	s_mov_b32 s47, 0
                                        ; implicit-def: $sgpr44
                                        ; implicit-def: $sgpr45
                                        ; implicit-def: $sgpr46
	s_delay_alu instid0(VALU_DEP_1)
	v_cmp_eq_u32_e32 vcc_lo, 0, v9
	s_branch .LBB2_455
.LBB2_452:                              ;   in Loop: Header=BB2_455 Depth=4
	s_wait_loadcnt_dscnt 0x0
	v_cmp_ge_u64_e64 s10, v[26:27], v[102:103]
	s_or_b32 s58, s58, exec_lo
	s_or_not1_b32 s57, s10, exec_lo
.LBB2_453:                              ;   in Loop: Header=BB2_455 Depth=4
	s_or_b32 exec_lo, exec_lo, s60
	s_delay_alu instid0(SALU_CYCLE_1)
	s_and_not1_b32 s10, s46, exec_lo
	s_and_b32 s46, s58, exec_lo
	s_and_not1_b32 s45, s45, exec_lo
	s_and_b32 s57, s57, exec_lo
	s_or_b32 s46, s10, s46
	s_or_b32 s45, s45, s57
.LBB2_454:                              ;   in Loop: Header=BB2_455 Depth=4
	s_or_b32 exec_lo, exec_lo, s56
	s_delay_alu instid0(SALU_CYCLE_1) | instskip(NEXT) | instid1(SALU_CYCLE_1)
	s_and_b32 s10, exec_lo, s45
	s_or_b32 s43, s10, s43
	s_and_not1_b32 s10, s44, exec_lo
	s_and_b32 s44, s46, exec_lo
	s_delay_alu instid0(SALU_CYCLE_1)
	s_or_b32 s44, s10, s44
	s_and_not1_b32 exec_lo, exec_lo, s43
	s_cbranch_execz .LBB2_459
.LBB2_455:                              ;   Parent Loop BB2_53 Depth=1
                                        ;     Parent Loop BB2_89 Depth=2
                                        ;       Parent Loop BB2_447 Depth=3
                                        ; =>      This Inner Loop Header: Depth=4
	s_sleep 1
	s_wait_loadcnt_dscnt 0x0
	flat_load_b64 v[26:27], v[18:19] scope:SCOPE_SYS
	s_or_b32 s46, s46, exec_lo
	s_or_b32 s45, s45, exec_lo
                                        ; implicit-def: $vgpr9
	s_wait_xcnt 0x0
	s_and_saveexec_b32 s56, vcc_lo
	s_cbranch_execz .LBB2_454
; %bb.456:                              ;   in Loop: Header=BB2_455 Depth=4
	s_cmp_lt_i32 s47, 0x270f
	s_mov_b32 s57, -1
	s_cselect_b32 s59, -1, 0
	s_cmp_gt_i32 s47, 0x270e
	s_cbranch_scc0 .LBB2_458
; %bb.457:                              ;   in Loop: Header=BB2_455 Depth=4
	s_trap 2
	ds_load_b64 v[112:113], v0
	s_and_not1_b32 s47, s59, exec_lo
	s_mov_b32 s58, 0
	s_wait_storecnt 0x0
	s_wait_loadcnt_dscnt 0x0
	flat_load_b32 v9, v[112:113] scope:SCOPE_SYS
	s_wait_loadcnt_dscnt 0x0
	global_inv scope:SCOPE_SYS
	v_cmp_eq_u32_e64 s10, 0, v9
	s_and_b32 s10, s10, exec_lo
	s_delay_alu instid0(SALU_CYCLE_1)
	s_or_b32 s59, s47, s10
	s_mov_b32 s47, 0
	s_and_saveexec_b32 s60, s59
	s_cbranch_execz .LBB2_453
	s_branch .LBB2_452
.LBB2_458:                              ;   in Loop: Header=BB2_455 Depth=4
	s_add_co_i32 s47, s47, 1
	s_mov_b32 s58, -1
                                        ; implicit-def: $vgpr9
	s_and_saveexec_b32 s60, s59
	s_cbranch_execz .LBB2_453
	s_branch .LBB2_452
.LBB2_459:                              ;   in Loop: Header=BB2_447 Depth=3
	s_or_b32 exec_lo, exec_lo, s43
	s_xor_b32 s10, s44, -1
	s_delay_alu instid0(SALU_CYCLE_1) | instskip(NEXT) | instid1(SALU_CYCLE_1)
	s_and_saveexec_b32 s43, s10
	s_xor_b32 s10, exec_lo, s43
	s_cbranch_execz .LBB2_461
; %bb.460:                              ;   in Loop: Header=BB2_447 Depth=3
	v_or_b32_e32 v82, 64, v82
	s_wait_storecnt 0x0
	s_wait_loadcnt_dscnt 0x0
	ds_store_b32 v0, v9
	s_trap 2
.LBB2_461:                              ;   in Loop: Header=BB2_447 Depth=3
	s_or_b32 exec_lo, exec_lo, s10
.LBB2_462:                              ;   in Loop: Header=BB2_447 Depth=3
	s_delay_alu instid0(SALU_CYCLE_1)
	s_or_b32 exec_lo, exec_lo, s42
	v_and_b32_e32 v9, 0x100, v82
	v_and_b32_e32 v34, 7, v84
	s_mov_b32 s10, -1
	s_mov_b32 s42, exec_lo
	;;#ASMSTART
	s_wakeup
	;;#ASMEND
                                        ; implicit-def: $vgpr84_vgpr85
	v_cmpx_ne_u32_e32 0, v9
	s_cbranch_execz .LBB2_466
; %bb.463:                              ;   in Loop: Header=BB2_447 Depth=3
	v_mad_nc_u64_u32 v[112:113], v34, 24, v[4:5]
	s_mov_b32 s43, exec_lo
                                        ; implicit-def: $vgpr84_vgpr85
	flat_load_b32 v9, v[112:113]
	s_wait_loadcnt_dscnt 0x0
	v_cmp_ne_u32_e32 vcc_lo, 1, v9
	s_wait_xcnt 0x0
	v_cmpx_eq_u32_e32 1, v9
	s_cbranch_execz .LBB2_465
; %bb.464:                              ;   in Loop: Header=BB2_447 Depth=3
	flat_load_b32 v84, v[112:113] offset:4 scope:SCOPE_SYS
	s_wait_loadcnt_dscnt 0x0
	v_ashrrev_i32_e32 v85, 31, v84
.LBB2_465:                              ;   in Loop: Header=BB2_447 Depth=3
	s_wait_xcnt 0x0
	s_or_b32 exec_lo, exec_lo, s43
	s_delay_alu instid0(SALU_CYCLE_1)
	s_or_not1_b32 s10, vcc_lo, exec_lo
.LBB2_466:                              ;   in Loop: Header=BB2_447 Depth=3
	s_or_b32 exec_lo, exec_lo, s42
	s_and_saveexec_b32 s42, s10
; %bb.467:                              ;   in Loop: Header=BB2_447 Depth=3
	v_mul_u64_e32 v[84:85], v[34:35], v[20:21]
; %bb.468:                              ;   in Loop: Header=BB2_447 Depth=3
	s_or_b32 exec_lo, exec_lo, s42
	s_delay_alu instid0(VALU_DEP_1)
	v_add_nc_u64_e32 v[84:85], v[22:23], v[84:85]
	v_and_b32_e32 v9, 0x2000, v82
	s_mov_b32 s10, exec_lo
	ds_store_b64 v0, v[84:85] offset:720
	v_cmpx_ne_u32_e32 0, v9
	s_cbranch_execz .LBB2_470
; %bb.469:                              ;   in Loop: Header=BB2_447 Depth=3
	ds_load_b64 v[84:85], v0 offset:872
	s_wait_dscnt 0x0
	v_add_nc_u64_e32 v[84:85], 1, v[84:85]
	ds_store_b64 v0, v[84:85] offset:872
.LBB2_470:                              ;   in Loop: Header=BB2_447 Depth=3
	s_or_b32 exec_lo, exec_lo, s10
	v_mov_b64_e32 v[84:85], v[102:103]
.LBB2_471:                              ;   in Loop: Header=BB2_447 Depth=3
	s_or_b32 exec_lo, exec_lo, s41
	s_and_saveexec_b32 s10, s1
	s_cbranch_execz .LBB2_490
; %bb.472:                              ;   in Loop: Header=BB2_447 Depth=3
	s_and_saveexec_b32 s41, s2
	s_delay_alu instid0(SALU_CYCLE_1)
	s_xor_b32 s41, exec_lo, s41
	s_cbranch_execz .LBB2_487
; %bb.473:                              ;   in Loop: Header=BB2_447 Depth=3
	s_and_saveexec_b32 s42, s5
	s_cbranch_execz .LBB2_486
; %bb.474:                              ;   in Loop: Header=BB2_447 Depth=3
	s_mov_b32 s44, exec_lo
	s_mov_b32 s43, exec_lo
	v_mbcnt_lo_u32_b32 v9, s44, 0
	global_wb scope:SCOPE_DEV
	s_wait_storecnt 0x0
	s_wait_loadcnt_dscnt 0x0
	global_inv scope:SCOPE_DEV
	v_cmpx_eq_u32_e32 0, v9
	s_cbranch_execz .LBB2_476
; %bb.475:                              ;   in Loop: Header=BB2_447 Depth=3
	s_bcnt1_i32_b32 s44, s44
	s_delay_alu instid0(SALU_CYCLE_1)
	v_mov_b32_e32 v34, s44
	s_wait_loadcnt 0x0
	ds_add_u64 v0, v[34:35]
	s_trap 2
.LBB2_476:                              ;   in Loop: Header=BB2_447 Depth=3
	s_or_b32 exec_lo, exec_lo, s43
	s_trap 2
	ds_load_b64 v[102:103], v0
	s_wait_dscnt 0x0
	v_add_nc_u64_e32 v[10:11], v[10:11], v[36:37]
	s_mov_b32 s43, exec_lo
	s_delay_alu instid0(VALU_DEP_1)
	v_cmpx_lt_u64_e64 v[102:103], v[10:11]
	s_cbranch_execz .LBB2_485
; %bb.477:                              ;   in Loop: Header=BB2_447 Depth=3
	s_mov_b32 s44, 0
	s_mov_b32 s47, 0
                                        ; implicit-def: $sgpr45
                                        ; implicit-def: $sgpr46
	s_branch .LBB2_479
.LBB2_478:                              ;   in Loop: Header=BB2_479 Depth=4
	s_or_b32 exec_lo, exec_lo, s57
	s_delay_alu instid0(SALU_CYCLE_1) | instskip(NEXT) | instid1(SALU_CYCLE_1)
	s_and_b32 s56, exec_lo, s58
	s_or_b32 s44, s56, s44
	s_and_not1_b32 s45, s45, exec_lo
	s_and_b32 s56, s46, exec_lo
	s_delay_alu instid0(SALU_CYCLE_1)
	s_or_b32 s45, s45, s56
	s_and_not1_b32 exec_lo, exec_lo, s44
	s_cbranch_execz .LBB2_483
.LBB2_479:                              ;   Parent Loop BB2_53 Depth=1
                                        ;     Parent Loop BB2_89 Depth=2
                                        ;       Parent Loop BB2_447 Depth=3
                                        ; =>      This Inner Loop Header: Depth=4
	s_add_co_i32 s47, s47, 1
	s_delay_alu instid0(SALU_CYCLE_1) | instskip(SKIP_1) | instid1(SALU_CYCLE_1)
	s_cmp_lg_u32 s47, 0x2710
	s_cselect_b32 s56, -1, 0
	s_and_b32 vcc_lo, exec_lo, s56
	s_cbranch_vccz .LBB2_481
; %bb.480:                              ;   in Loop: Header=BB2_479 Depth=4
	s_mov_b32 s58, -1
	s_or_b32 s46, s46, exec_lo
	s_and_saveexec_b32 s57, s56
	s_cbranch_execz .LBB2_478
	s_branch .LBB2_482
.LBB2_481:                              ;   in Loop: Header=BB2_479 Depth=4
	s_trap 2
	ds_load_b64 v[102:103], v0
	s_and_not1_b32 s56, s56, exec_lo
	s_mov_b32 s47, 0
	s_wait_loadcnt_dscnt 0x0
	flat_load_b32 v9, v[102:103] scope:SCOPE_SYS
	s_wait_loadcnt_dscnt 0x0
	global_inv scope:SCOPE_SYS
	v_cmp_eq_u32_e32 vcc_lo, 0, v9
	s_and_b32 s57, vcc_lo, exec_lo
	s_delay_alu instid0(SALU_CYCLE_1)
	s_or_b32 s56, s56, s57
	s_mov_b32 s58, -1
	s_or_b32 s46, s46, exec_lo
	s_and_saveexec_b32 s57, s56
	s_cbranch_execz .LBB2_478
.LBB2_482:                              ;   in Loop: Header=BB2_479 Depth=4
	s_sleep 1
	s_trap 2
	ds_load_b64 v[102:103], v0
	s_wait_dscnt 0x0
	s_and_not1_b32 s46, s46, exec_lo
	v_cmp_ge_u64_e32 vcc_lo, v[102:103], v[10:11]
	s_or_not1_b32 s58, vcc_lo, exec_lo
	s_branch .LBB2_478
.LBB2_483:                              ;   in Loop: Header=BB2_447 Depth=3
	s_or_b32 exec_lo, exec_lo, s44
	s_and_saveexec_b32 s44, s45
	s_delay_alu instid0(SALU_CYCLE_1)
	s_xor_b32 s44, exec_lo, s44
	s_cbranch_execz .LBB2_485
; %bb.484:                              ;   in Loop: Header=BB2_447 Depth=3
	ds_store_b32 v0, v57
	s_trap 2
.LBB2_485:                              ;   in Loop: Header=BB2_447 Depth=3
	s_or_b32 exec_lo, exec_lo, s43
	;;#ASMSTART
	s_wakeup
	;;#ASMEND
.LBB2_486:                              ;   in Loop: Header=BB2_447 Depth=3
	s_or_b32 exec_lo, exec_lo, s42
.LBB2_487:                              ;   in Loop: Header=BB2_447 Depth=3
	s_and_not1_saveexec_b32 s41, s41
	s_cbranch_execz .LBB2_489
; %bb.488:                              ;   in Loop: Header=BB2_447 Depth=3
	global_wb scope:SCOPE_DEV
	s_wait_storecnt 0x0
	s_wait_loadcnt_dscnt 0x0
	global_inv scope:SCOPE_DEV
	s_barrier_signal -1
	s_barrier_wait -1
.LBB2_489:                              ;   in Loop: Header=BB2_447 Depth=3
	s_or_b32 exec_lo, exec_lo, s41
.LBB2_490:                              ;   in Loop: Header=BB2_447 Depth=3
	s_delay_alu instid0(SALU_CYCLE_1) | instskip(SKIP_3) | instid1(VALU_DEP_1)
	s_or_b32 exec_lo, exec_lo, s10
	s_trap 2
	ds_load_b32 v9, v0
	v_and_b32_e32 v34, 0x4000, v82
	v_cmp_ne_u32_e32 vcc_lo, 0, v34
	s_and_b32 s41, s22, vcc_lo
	s_delay_alu instid0(SALU_CYCLE_1)
	s_and_saveexec_b32 s10, s41
	s_cbranch_execz .LBB2_509
; %bb.491:                              ;   in Loop: Header=BB2_447 Depth=3
	s_and_saveexec_b32 s41, s2
	s_delay_alu instid0(SALU_CYCLE_1)
	s_xor_b32 s41, exec_lo, s41
	s_cbranch_execz .LBB2_506
; %bb.492:                              ;   in Loop: Header=BB2_447 Depth=3
	s_and_saveexec_b32 s42, s5
	s_cbranch_execz .LBB2_505
; %bb.493:                              ;   in Loop: Header=BB2_447 Depth=3
	s_mov_b32 s44, exec_lo
	s_mov_b32 s43, exec_lo
	v_mbcnt_lo_u32_b32 v34, s44, 0
	global_wb scope:SCOPE_DEV
	s_wait_storecnt 0x0
	s_wait_loadcnt_dscnt 0x0
	global_inv scope:SCOPE_DEV
	v_cmpx_eq_u32_e32 0, v34
	s_cbranch_execz .LBB2_495
; %bb.494:                              ;   in Loop: Header=BB2_447 Depth=3
	s_bcnt1_i32_b32 s44, s44
	s_delay_alu instid0(SALU_CYCLE_1)
	v_mov_b32_e32 v34, s44
	s_wait_loadcnt 0x0
	ds_add_u64 v0, v[34:35]
	s_trap 2
.LBB2_495:                              ;   in Loop: Header=BB2_447 Depth=3
	s_or_b32 exec_lo, exec_lo, s43
	s_trap 2
	ds_load_b64 v[102:103], v0
	s_wait_dscnt 0x0
	v_add_nc_u64_e32 v[10:11], v[10:11], v[36:37]
	s_mov_b32 s43, exec_lo
	s_delay_alu instid0(VALU_DEP_1)
	v_cmpx_lt_u64_e64 v[102:103], v[10:11]
	s_cbranch_execz .LBB2_504
; %bb.496:                              ;   in Loop: Header=BB2_447 Depth=3
	s_mov_b32 s44, 0
	s_mov_b32 s47, 0
                                        ; implicit-def: $sgpr45
                                        ; implicit-def: $sgpr46
	s_branch .LBB2_498
.LBB2_497:                              ;   in Loop: Header=BB2_498 Depth=4
	s_or_b32 exec_lo, exec_lo, s57
	s_delay_alu instid0(SALU_CYCLE_1) | instskip(NEXT) | instid1(SALU_CYCLE_1)
	s_and_b32 s56, exec_lo, s58
	s_or_b32 s44, s56, s44
	s_and_not1_b32 s45, s45, exec_lo
	s_and_b32 s56, s46, exec_lo
	s_delay_alu instid0(SALU_CYCLE_1)
	s_or_b32 s45, s45, s56
	s_and_not1_b32 exec_lo, exec_lo, s44
	s_cbranch_execz .LBB2_502
.LBB2_498:                              ;   Parent Loop BB2_53 Depth=1
                                        ;     Parent Loop BB2_89 Depth=2
                                        ;       Parent Loop BB2_447 Depth=3
                                        ; =>      This Inner Loop Header: Depth=4
	s_add_co_i32 s47, s47, 1
	s_delay_alu instid0(SALU_CYCLE_1) | instskip(SKIP_1) | instid1(SALU_CYCLE_1)
	s_cmp_lg_u32 s47, 0x2710
	s_cselect_b32 s56, -1, 0
	s_and_b32 vcc_lo, exec_lo, s56
	s_cbranch_vccz .LBB2_500
; %bb.499:                              ;   in Loop: Header=BB2_498 Depth=4
	s_mov_b32 s58, -1
	s_or_b32 s46, s46, exec_lo
	s_and_saveexec_b32 s57, s56
	s_cbranch_execz .LBB2_497
	s_branch .LBB2_501
.LBB2_500:                              ;   in Loop: Header=BB2_498 Depth=4
	s_trap 2
	ds_load_b64 v[102:103], v0
	s_and_not1_b32 s56, s56, exec_lo
	s_mov_b32 s47, 0
	s_wait_loadcnt_dscnt 0x0
	flat_load_b32 v34, v[102:103] scope:SCOPE_SYS
	s_wait_loadcnt_dscnt 0x0
	global_inv scope:SCOPE_SYS
	v_cmp_eq_u32_e32 vcc_lo, 0, v34
	s_and_b32 s57, vcc_lo, exec_lo
	s_delay_alu instid0(SALU_CYCLE_1)
	s_or_b32 s56, s56, s57
	s_mov_b32 s58, -1
	s_or_b32 s46, s46, exec_lo
	s_and_saveexec_b32 s57, s56
	s_cbranch_execz .LBB2_497
.LBB2_501:                              ;   in Loop: Header=BB2_498 Depth=4
	s_sleep 1
	s_trap 2
	ds_load_b64 v[102:103], v0
	s_wait_dscnt 0x0
	s_and_not1_b32 s46, s46, exec_lo
	v_cmp_ge_u64_e32 vcc_lo, v[102:103], v[10:11]
	s_or_not1_b32 s58, vcc_lo, exec_lo
	s_branch .LBB2_497
.LBB2_502:                              ;   in Loop: Header=BB2_447 Depth=3
	s_or_b32 exec_lo, exec_lo, s44
	s_and_saveexec_b32 s44, s45
	s_delay_alu instid0(SALU_CYCLE_1)
	s_xor_b32 s44, exec_lo, s44
	s_cbranch_execz .LBB2_504
; %bb.503:                              ;   in Loop: Header=BB2_447 Depth=3
	ds_store_b32 v0, v57
	s_trap 2
.LBB2_504:                              ;   in Loop: Header=BB2_447 Depth=3
	s_or_b32 exec_lo, exec_lo, s43
	;;#ASMSTART
	s_wakeup
	;;#ASMEND
.LBB2_505:                              ;   in Loop: Header=BB2_447 Depth=3
	s_or_b32 exec_lo, exec_lo, s42
.LBB2_506:                              ;   in Loop: Header=BB2_447 Depth=3
	s_and_not1_saveexec_b32 s41, s41
	s_cbranch_execz .LBB2_508
; %bb.507:                              ;   in Loop: Header=BB2_447 Depth=3
	global_wb scope:SCOPE_DEV
	s_wait_storecnt 0x0
	s_wait_loadcnt_dscnt 0x0
	global_inv scope:SCOPE_DEV
	s_barrier_signal -1
	s_barrier_wait -1
.LBB2_508:                              ;   in Loop: Header=BB2_447 Depth=3
	s_or_b32 exec_lo, exec_lo, s41
.LBB2_509:                              ;   in Loop: Header=BB2_447 Depth=3
	s_delay_alu instid0(SALU_CYCLE_1) | instskip(SKIP_3) | instid1(VALU_DEP_1)
	s_or_b32 exec_lo, exec_lo, s10
	s_trap 2
	ds_load_b64 v[102:103], v0
	v_sub_nc_u32_e32 v34, v116, v8
	v_min_i32_e32 v117, v117, v34
	s_wait_dscnt 0x0
	v_cmp_eq_u64_e32 vcc_lo, 0, v[102:103]
	s_cbranch_vccnz .LBB2_517
; %bb.510:                              ;   in Loop: Header=BB2_447 Depth=3
	s_trap 2
	ds_load_b64 v[112:113], v0
	s_wait_dscnt 0x0
	v_cmp_eq_u64_e32 vcc_lo, 0, v[112:113]
	s_cbranch_vccnz .LBB2_517
; %bb.511:                              ;   in Loop: Header=BB2_447 Depth=3
	s_mov_b32 s10, -1
	s_and_saveexec_b32 s41, s7
	s_cbranch_execz .LBB2_513
; %bb.512:                              ;   in Loop: Header=BB2_447 Depth=3
	ds_load_b32 v34, v0 offset:720
	s_wait_dscnt 0x0
	v_and_b32_e32 v34, 15, v34
	s_delay_alu instid0(VALU_DEP_1)
	v_cmp_eq_u32_e32 vcc_lo, 0, v34
	s_or_not1_b32 s10, vcc_lo, exec_lo
.LBB2_513:                              ;   in Loop: Header=BB2_447 Depth=3
	s_or_b32 exec_lo, exec_lo, s41
	s_and_saveexec_b32 s41, s6
	s_cbranch_execz .LBB2_515
; %bb.514:                              ;   in Loop: Header=BB2_447 Depth=3
	ds_load_b32 v34, v0 offset:784
	s_wait_dscnt 0x0
	v_and_b32_e32 v34, 15, v34
	s_delay_alu instid0(VALU_DEP_1) | instskip(SKIP_3) | instid1(SALU_CYCLE_1)
	v_cmp_eq_u32_e32 vcc_lo, 0, v34
	s_and_b32 s42, s10, vcc_lo
	s_and_not1_b32 s10, s10, exec_lo
	s_and_b32 s42, s42, exec_lo
	s_or_b32 s10, s10, s42
.LBB2_515:                              ;   in Loop: Header=BB2_447 Depth=3
	s_or_b32 exec_lo, exec_lo, s41
	v_cmp_eq_u32_e32 vcc_lo, 0, v9
	s_xor_b32 s10, s10, -1
	v_mov_b32_e32 v114, v68
	v_cndmask_b32_e64 v34, 0, 1, s10
	s_mov_b32 s42, -1
	v_dual_cndmask_b32 v9, 0, v117, vcc_lo :: v_dual_mov_b32 v119, v0
	s_delay_alu instid0(VALU_DEP_2) | instskip(NEXT) | instid1(VALU_DEP_2)
	v_cmp_ne_u32_e32 vcc_lo, 0, v34
	v_dual_mov_b32 v34, 0 :: v_dual_mov_b32 v118, v9
	s_cbranch_vccz .LBB2_518
; %bb.516:                              ;   in Loop: Header=BB2_447 Depth=3
	s_and_saveexec_b32 s10, s42
	s_cbranch_execnz .LBB2_531
	s_branch .LBB2_539
.LBB2_517:                              ;   in Loop: Header=BB2_447 Depth=3
	s_mov_b32 s10, 0
	s_and_saveexec_b32 s41, s1
	s_cbranch_execnz .LBB2_540
	s_branch .LBB2_558
.LBB2_518:                              ;   in Loop: Header=BB2_447 Depth=3
	v_ashrrev_i32_e32 v34, 31, v9
	s_mov_b32 s10, exec_lo
	s_delay_alu instid0(VALU_DEP_1) | instskip(NEXT) | instid1(VALU_DEP_1)
	v_lshrrev_b32_e32 v34, 22, v34
	v_add_nc_u32_e32 v34, v9, v34
	s_delay_alu instid0(VALU_DEP_1) | instskip(NEXT) | instid1(VALU_DEP_1)
	v_ashrrev_i32_e32 v34, 10, v34
	v_sub_nc_u32_e32 v41, v34, v68
	s_delay_alu instid0(VALU_DEP_1)
	v_cmpx_lt_i32_e32 0, v41
	s_cbranch_execz .LBB2_522
; %bb.519:                              ;   in Loop: Header=BB2_447 Depth=3
	v_mov_b64_e32 v[114:115], v[70:71]
	s_mov_b32 s41, 0
.LBB2_520:                              ;   Parent Loop BB2_53 Depth=1
                                        ;     Parent Loop BB2_89 Depth=2
                                        ;       Parent Loop BB2_447 Depth=3
                                        ; =>      This Inner Loop Header: Depth=4
	s_delay_alu instid0(VALU_DEP_1)
	v_add_nc_u64_e32 v[118:119], v[102:103], v[114:115]
	v_sub_nc_u32_e32 v41, v41, v36
	s_clause 0x1
	global_load_b128 v[42:45], v[118:119], off th:TH_LOAD_NT
	global_load_b128 v[60:63], v[118:119], off offset:512 th:TH_LOAD_NT
	s_wait_xcnt 0x0
	v_add_nc_u64_e32 v[118:119], v[112:113], v[114:115]
	v_cmp_gt_i32_e32 vcc_lo, 1, v41
	v_add_nc_u64_e32 v[114:115], v[114:115], v[50:51]
	s_wait_loadcnt 0x1
	global_store_b128 v[118:119], v[42:45], off th:TH_STORE_NT
	s_wait_loadcnt 0x0
	global_store_b128 v[118:119], v[60:63], off offset:512 th:TH_STORE_NT
	s_or_b32 s41, vcc_lo, s41
	s_wait_xcnt 0x0
	s_and_not1_b32 exec_lo, exec_lo, s41
	s_cbranch_execnz .LBB2_520
; %bb.521:                              ;   in Loop: Header=BB2_447 Depth=3
	s_or_b32 exec_lo, exec_lo, s41
.LBB2_522:                              ;   in Loop: Header=BB2_447 Depth=3
	s_delay_alu instid0(SALU_CYCLE_1) | instskip(SKIP_3) | instid1(VALU_DEP_1)
	s_or_b32 exec_lo, exec_lo, s10
	v_dual_lshlrev_b32 v40, 10, v34 :: v_dual_mov_b32 v34, 0
	s_mov_b32 s42, 0
	s_mov_b32 s41, exec_lo
                                        ; implicit-def: $vgpr118
                                        ; implicit-def: $vgpr119
                                        ; implicit-def: $vgpr114
	v_cmpx_ne_u32_e64 v9, v40
	s_cbranch_execz .LBB2_530
; %bb.523:                              ;   in Loop: Header=BB2_447 Depth=3
	v_dual_lshlrev_b32 v34, 5, v41 :: v_dual_sub_nc_u32 v115, v9, v40
	s_mov_b32 s42, exec_lo
	s_delay_alu instid0(VALU_DEP_1) | instskip(NEXT) | instid1(VALU_DEP_1)
	v_dual_sub_nc_u32 v34, v58, v34 :: v_dual_ashrrev_i32 v118, 31, v115
	v_ashrrev_i32_e32 v114, 31, v34
	s_delay_alu instid0(VALU_DEP_2) | instskip(NEXT) | instid1(VALU_DEP_1)
	v_lshrrev_b32_e32 v118, 23, v118
	v_add_nc_u32_e32 v118, v115, v118
	s_delay_alu instid0(VALU_DEP_1) | instskip(NEXT) | instid1(VALU_DEP_4)
	v_and_b32_e32 v41, 0xfffffe00, v118
	v_lshrrev_b32_e32 v114, 27, v114
	s_delay_alu instid0(VALU_DEP_2) | instskip(NEXT) | instid1(VALU_DEP_2)
	v_dual_ashrrev_i32 v118, 9, v118 :: v_dual_sub_nc_u32 v43, v115, v41
	v_add_nc_u32_e32 v114, v34, v114
	s_delay_alu instid0(VALU_DEP_2) | instskip(NEXT) | instid1(VALU_DEP_2)
	v_cmp_lt_i32_e32 vcc_lo, 15, v43
	v_and_b32_e32 v119, 0xffffffe0, v114
	s_delay_alu instid0(VALU_DEP_4) | instskip(NEXT) | instid1(VALU_DEP_2)
	v_add_co_ci_u32_e64 v118, null, 0, v118, vcc_lo
	v_dual_sub_nc_u32 v42, v34, v119 :: v_dual_ashrrev_i32 v119, 5, v114
	s_delay_alu instid0(VALU_DEP_1) | instskip(NEXT) | instid1(VALU_DEP_1)
	v_lshlrev_b32_e32 v34, 4, v42
	v_lshl_add_u32 v114, v119, 9, v34
	s_delay_alu instid0(VALU_DEP_1) | instskip(NEXT) | instid1(VALU_DEP_1)
	v_dual_sub_nc_u32 v34, v115, v114 :: v_dual_sub_nc_u32 v44, v118, v119
	v_cmpx_lt_i32_e32 15, v34
	s_cbranch_execz .LBB2_527
; %bb.524:                              ;   in Loop: Header=BB2_447 Depth=3
	v_add_nc_u32_e32 v114, v114, v40
	s_mov_b32 s43, 0
	s_delay_alu instid0(VALU_DEP_1)
	v_ashrrev_i32_e32 v115, 31, v114
.LBB2_525:                              ;   Parent Loop BB2_53 Depth=1
                                        ;     Parent Loop BB2_89 Depth=2
                                        ;       Parent Loop BB2_447 Depth=3
                                        ; =>      This Inner Loop Header: Depth=4
	s_delay_alu instid0(VALU_DEP_1) | instskip(SKIP_2) | instid1(VALU_DEP_2)
	v_add_nc_u64_e32 v[118:119], v[102:103], v[114:115]
	v_sub_nc_u32_e32 v34, v34, v52
	v_sub_nc_u32_e32 v44, v44, v36
	v_cmp_gt_i32_e64 s10, 16, v34
	global_load_b128 v[60:63], v[118:119], off th:TH_LOAD_NT
	s_wait_xcnt 0x0
	v_add_nc_u64_e32 v[118:119], v[112:113], v[114:115]
	v_add_nc_u64_e32 v[114:115], v[114:115], v[52:53]
	s_or_b32 s43, s10, s43
	s_wait_loadcnt 0x0
	global_store_b128 v[118:119], v[60:63], off th:TH_STORE_NT
	s_wait_xcnt 0x0
	s_and_not1_b32 exec_lo, exec_lo, s43
	s_cbranch_execnz .LBB2_525
; %bb.526:                              ;   in Loop: Header=BB2_447 Depth=3
	s_or_b32 exec_lo, exec_lo, s43
.LBB2_527:                              ;   in Loop: Header=BB2_447 Depth=3
	s_delay_alu instid0(SALU_CYCLE_1) | instskip(SKIP_3) | instid1(VALU_DEP_1)
	s_or_b32 exec_lo, exec_lo, s42
	v_dual_mov_b32 v34, 0 :: v_dual_bitop2_b32 v115, 15, v9 bitop3:0x40
	s_mov_b32 s42, 0
	s_mov_b32 s43, exec_lo
                                        ; implicit-def: $vgpr119
                                        ; implicit-def: $vgpr114
	v_cndmask_b32_e32 v118, v43, v115, vcc_lo
	s_delay_alu instid0(VALU_DEP_1)
	v_cmpx_ne_u32_e32 0, v118
	s_cbranch_execz .LBB2_529
; %bb.528:                              ;   in Loop: Header=BB2_447 Depth=3
	v_cmp_lt_i32_e64 s10, 0, v44
	s_mov_b32 s42, exec_lo
	v_dual_sub_nc_u32 v114, v43, v115 :: v_dual_cndmask_b32 v34, 0, v36, s10
	s_delay_alu instid0(VALU_DEP_1) | instskip(NEXT) | instid1(VALU_DEP_1)
	v_dual_cndmask_b32 v114, 0, v114, vcc_lo :: v_dual_sub_nc_u32 v34, v34, v44
	v_lshl_add_u32 v119, v34, 5, v42
	s_delay_alu instid0(VALU_DEP_1) | instskip(NEXT) | instid1(VALU_DEP_1)
	v_ashrrev_i32_e32 v34, 31, v119
	v_lshrrev_b32_e32 v34, 27, v34
	s_delay_alu instid0(VALU_DEP_1) | instskip(SKIP_1) | instid1(VALU_DEP_2)
	v_add_nc_u32_e32 v115, v119, v34
	v_add3_u32 v34, v41, v40, v114
	v_ashrrev_i32_e32 v114, 5, v115
.LBB2_529:                              ;   in Loop: Header=BB2_447 Depth=3
	s_or_b32 exec_lo, exec_lo, s43
	s_delay_alu instid0(SALU_CYCLE_1)
	s_and_b32 s42, s42, exec_lo
.LBB2_530:                              ;   in Loop: Header=BB2_447 Depth=3
	s_or_b32 exec_lo, exec_lo, s41
	s_and_saveexec_b32 s10, s42
	s_cbranch_execz .LBB2_539
.LBB2_531:                              ;   in Loop: Header=BB2_447 Depth=3
	v_ashrrev_i32_e32 v115, 31, v118
	s_mov_b32 s41, exec_lo
	s_delay_alu instid0(VALU_DEP_1) | instskip(NEXT) | instid1(VALU_DEP_1)
	v_lshrrev_b32_e32 v115, 24, v115
	v_add_nc_u32_e32 v115, v118, v115
	s_delay_alu instid0(VALU_DEP_1) | instskip(SKIP_1) | instid1(VALU_DEP_1)
	v_ashrrev_i32_e32 v42, 8, v115
	v_ashrrev_i32_e32 v115, 31, v119
	v_dual_lshrrev_b32 v41, 27, v115 :: v_dual_sub_nc_u32 v40, v42, v114
	s_delay_alu instid0(VALU_DEP_1)
	v_cmpx_lt_i32_e32 0, v40
	s_cbranch_execz .LBB2_535
; %bb.532:                              ;   in Loop: Header=BB2_447 Depth=3
	s_delay_alu instid0(VALU_DEP_2) | instskip(SKIP_1) | instid1(VALU_DEP_1)
	v_dual_add_nc_u32 v115, v119, v41 :: v_dual_lshlrev_b32 v114, 8, v114
	s_mov_b32 s42, 0
	v_and_b32_e32 v115, 0xffffffe0, v115
	s_delay_alu instid0(VALU_DEP_1) | instskip(NEXT) | instid1(VALU_DEP_1)
	v_sub_nc_u32_e32 v115, v119, v115
	v_add3_u32 v114, v34, v115, v114
	s_delay_alu instid0(VALU_DEP_1)
	v_ashrrev_i32_e32 v115, 31, v114
.LBB2_533:                              ;   Parent Loop BB2_53 Depth=1
                                        ;     Parent Loop BB2_89 Depth=2
                                        ;       Parent Loop BB2_447 Depth=3
                                        ; =>      This Inner Loop Header: Depth=4
	s_delay_alu instid0(VALU_DEP_1)
	v_add_nc_u64_e32 v[44:45], v[114:115], v[102:103]
	v_sub_nc_u32_e32 v40, v40, v36
	v_add_nc_u64_e32 v[102:103], v[102:103], v[54:55]
	s_clause 0x7
	flat_load_u8 v43, v[44:45] th:TH_LOAD_NT
	flat_load_u8 v46, v[44:45] offset:32 th:TH_LOAD_NT
	flat_load_u8 v47, v[44:45] offset:64 th:TH_LOAD_NT
	;; [unrolled: 1-line block ×7, first 2 shown]
	s_wait_xcnt 0x0
	v_add_nc_u64_e32 v[44:45], v[114:115], v[112:113]
	v_add_nc_u64_e32 v[112:113], v[112:113], v[54:55]
	v_cmp_gt_i32_e32 vcc_lo, 1, v40
	s_wait_loadcnt_dscnt 0x707
	flat_store_b8 v[44:45], v43 th:TH_STORE_NT
	s_wait_loadcnt_dscnt 0x607
	flat_store_b8 v[44:45], v46 offset:32 th:TH_STORE_NT
	s_wait_loadcnt_dscnt 0x507
	flat_store_b8 v[44:45], v47 offset:64 th:TH_STORE_NT
	;; [unrolled: 2-line block ×7, first 2 shown]
	s_or_b32 s42, vcc_lo, s42
	s_wait_xcnt 0x0
	s_and_not1_b32 exec_lo, exec_lo, s42
	s_cbranch_execnz .LBB2_533
; %bb.534:                              ;   in Loop: Header=BB2_447 Depth=3
	s_or_b32 exec_lo, exec_lo, s42
.LBB2_535:                              ;   in Loop: Header=BB2_447 Depth=3
	s_delay_alu instid0(SALU_CYCLE_1) | instskip(SKIP_1) | instid1(VALU_DEP_1)
	s_or_b32 exec_lo, exec_lo, s41
	v_lshlrev_b32_e32 v102, 8, v42
	v_cmp_ne_u32_e32 vcc_lo, v118, v102
	s_and_b32 exec_lo, exec_lo, vcc_lo
	s_cbranch_execz .LBB2_539
; %bb.536:                              ;   in Loop: Header=BB2_447 Depth=3
	v_dual_add_nc_u32 v103, v119, v41 :: v_dual_lshlrev_b32 v112, 5, v40
	s_delay_alu instid0(VALU_DEP_1) | instskip(NEXT) | instid1(VALU_DEP_1)
	v_and_b32_e32 v103, 0xffffffe0, v103
	v_sub_nc_u32_e32 v103, v119, v103
	s_delay_alu instid0(VALU_DEP_1) | instskip(NEXT) | instid1(VALU_DEP_1)
	v_sub_nc_u32_e32 v103, v103, v112
	v_add_nc_u32_e32 v112, v102, v103
	s_delay_alu instid0(VALU_DEP_1) | instskip(NEXT) | instid1(VALU_DEP_1)
	v_sub_nc_u32_e32 v114, v118, v112
	v_cmp_lt_i32_e32 vcc_lo, 0, v114
	s_and_b32 exec_lo, exec_lo, vcc_lo
	s_cbranch_execz .LBB2_539
; %bb.537:                              ;   in Loop: Header=BB2_447 Depth=3
	s_trap 2
	ds_load_b64 v[102:103], v0
	v_add_nc_u32_e32 v112, v112, v34
	s_mov_b32 s41, 0
	s_delay_alu instid0(VALU_DEP_1)
	v_ashrrev_i32_e32 v113, 31, v112
.LBB2_538:                              ;   Parent Loop BB2_53 Depth=1
                                        ;     Parent Loop BB2_89 Depth=2
                                        ;       Parent Loop BB2_447 Depth=3
                                        ; =>      This Inner Loop Header: Depth=4
	s_wait_dscnt 0x0
	s_delay_alu instid0(VALU_DEP_1) | instskip(SKIP_2) | instid1(VALU_DEP_2)
	v_add_nc_u64_e32 v[118:119], v[102:103], v[112:113]
	v_sub_nc_u32_e32 v114, v114, v38
	v_add_nc_u64_e32 v[112:113], v[112:113], v[38:39]
	v_cmp_gt_i32_e32 vcc_lo, 1, v114
	flat_load_u8 v34, v[118:119] th:TH_LOAD_NT
	s_or_b32 s41, vcc_lo, s41
	s_wait_loadcnt_dscnt 0x0
	flat_store_b8 v[118:119], v34 th:TH_STORE_NT
	s_wait_xcnt 0x0
	s_and_not1_b32 exec_lo, exec_lo, s41
	s_cbranch_execnz .LBB2_538
.LBB2_539:                              ;   in Loop: Header=BB2_447 Depth=3
	s_or_b32 exec_lo, exec_lo, s10
	v_cmp_lt_i32_e64 s10, 0, v9
	s_and_saveexec_b32 s41, s1
	s_cbranch_execz .LBB2_558
.LBB2_540:                              ;   in Loop: Header=BB2_447 Depth=3
	s_and_saveexec_b32 s42, s2
	s_delay_alu instid0(SALU_CYCLE_1)
	s_xor_b32 s42, exec_lo, s42
	s_cbranch_execz .LBB2_555
; %bb.541:                              ;   in Loop: Header=BB2_447 Depth=3
	s_and_saveexec_b32 s43, s5
	s_cbranch_execz .LBB2_554
; %bb.542:                              ;   in Loop: Header=BB2_447 Depth=3
	s_mov_b32 s45, exec_lo
	s_mov_b32 s44, exec_lo
	v_mbcnt_lo_u32_b32 v9, s45, 0
	global_wb scope:SCOPE_DEV
	s_wait_storecnt 0x0
	s_wait_loadcnt_dscnt 0x0
	global_inv scope:SCOPE_DEV
	v_cmpx_eq_u32_e32 0, v9
	s_cbranch_execz .LBB2_544
; %bb.543:                              ;   in Loop: Header=BB2_447 Depth=3
	s_bcnt1_i32_b32 s45, s45
	s_delay_alu instid0(SALU_CYCLE_1)
	v_mov_b32_e32 v34, s45
	s_wait_loadcnt 0x0
	ds_add_u64 v0, v[34:35]
	s_trap 2
.LBB2_544:                              ;   in Loop: Header=BB2_447 Depth=3
	s_or_b32 exec_lo, exec_lo, s44
	s_trap 2
	ds_load_b64 v[102:103], v0
	s_wait_dscnt 0x0
	v_add_nc_u64_e32 v[10:11], v[10:11], v[36:37]
	s_mov_b32 s44, exec_lo
	s_delay_alu instid0(VALU_DEP_1)
	v_cmpx_lt_u64_e64 v[102:103], v[10:11]
	s_cbranch_execz .LBB2_553
; %bb.545:                              ;   in Loop: Header=BB2_447 Depth=3
	s_mov_b32 s45, 0
	s_mov_b32 s56, 0
                                        ; implicit-def: $sgpr46
                                        ; implicit-def: $sgpr47
	s_branch .LBB2_547
.LBB2_546:                              ;   in Loop: Header=BB2_547 Depth=4
	s_or_b32 exec_lo, exec_lo, s58
	s_delay_alu instid0(SALU_CYCLE_1) | instskip(NEXT) | instid1(SALU_CYCLE_1)
	s_and_b32 s57, exec_lo, s59
	s_or_b32 s45, s57, s45
	s_and_not1_b32 s46, s46, exec_lo
	s_and_b32 s57, s47, exec_lo
	s_delay_alu instid0(SALU_CYCLE_1)
	s_or_b32 s46, s46, s57
	s_and_not1_b32 exec_lo, exec_lo, s45
	s_cbranch_execz .LBB2_551
.LBB2_547:                              ;   Parent Loop BB2_53 Depth=1
                                        ;     Parent Loop BB2_89 Depth=2
                                        ;       Parent Loop BB2_447 Depth=3
                                        ; =>      This Inner Loop Header: Depth=4
	s_add_co_i32 s56, s56, 1
	s_delay_alu instid0(SALU_CYCLE_1) | instskip(SKIP_1) | instid1(SALU_CYCLE_1)
	s_cmp_lg_u32 s56, 0x2710
	s_cselect_b32 s57, -1, 0
	s_and_b32 vcc_lo, exec_lo, s57
	s_cbranch_vccz .LBB2_549
; %bb.548:                              ;   in Loop: Header=BB2_547 Depth=4
	s_mov_b32 s59, -1
	s_or_b32 s47, s47, exec_lo
	s_and_saveexec_b32 s58, s57
	s_cbranch_execz .LBB2_546
	s_branch .LBB2_550
.LBB2_549:                              ;   in Loop: Header=BB2_547 Depth=4
	s_trap 2
	ds_load_b64 v[102:103], v0
	s_and_not1_b32 s57, s57, exec_lo
	s_mov_b32 s56, 0
	s_wait_loadcnt_dscnt 0x0
	flat_load_b32 v9, v[102:103] scope:SCOPE_SYS
	s_wait_loadcnt_dscnt 0x0
	global_inv scope:SCOPE_SYS
	v_cmp_eq_u32_e32 vcc_lo, 0, v9
	s_and_b32 s58, vcc_lo, exec_lo
	s_delay_alu instid0(SALU_CYCLE_1)
	s_or_b32 s57, s57, s58
	s_mov_b32 s59, -1
	s_or_b32 s47, s47, exec_lo
	s_and_saveexec_b32 s58, s57
	s_cbranch_execz .LBB2_546
.LBB2_550:                              ;   in Loop: Header=BB2_547 Depth=4
	s_sleep 1
	s_trap 2
	ds_load_b64 v[102:103], v0
	s_wait_dscnt 0x0
	s_and_not1_b32 s47, s47, exec_lo
	v_cmp_ge_u64_e32 vcc_lo, v[102:103], v[10:11]
	s_or_not1_b32 s59, vcc_lo, exec_lo
	s_branch .LBB2_546
.LBB2_551:                              ;   in Loop: Header=BB2_447 Depth=3
	s_or_b32 exec_lo, exec_lo, s45
	s_and_saveexec_b32 s45, s46
	s_delay_alu instid0(SALU_CYCLE_1)
	s_xor_b32 s45, exec_lo, s45
	s_cbranch_execz .LBB2_553
; %bb.552:                              ;   in Loop: Header=BB2_447 Depth=3
	ds_store_b32 v0, v57
	s_trap 2
.LBB2_553:                              ;   in Loop: Header=BB2_447 Depth=3
	s_or_b32 exec_lo, exec_lo, s44
	;;#ASMSTART
	s_wakeup
	;;#ASMEND
.LBB2_554:                              ;   in Loop: Header=BB2_447 Depth=3
	s_or_b32 exec_lo, exec_lo, s43
.LBB2_555:                              ;   in Loop: Header=BB2_447 Depth=3
	s_and_not1_saveexec_b32 s42, s42
	s_cbranch_execz .LBB2_557
; %bb.556:                              ;   in Loop: Header=BB2_447 Depth=3
	global_wb scope:SCOPE_DEV
	s_wait_storecnt 0x0
	s_wait_loadcnt_dscnt 0x0
	global_inv scope:SCOPE_DEV
	s_barrier_signal -1
	s_barrier_wait -1
.LBB2_557:                              ;   in Loop: Header=BB2_447 Depth=3
	s_or_b32 exec_lo, exec_lo, s42
.LBB2_558:                              ;   in Loop: Header=BB2_447 Depth=3
	s_delay_alu instid0(SALU_CYCLE_1) | instskip(SKIP_1) | instid1(VALU_DEP_1)
	s_or_b32 exec_lo, exec_lo, s41
	v_and_b32_e32 v9, 16, v82
	v_cmp_ne_u32_e32 vcc_lo, 0, v9
	s_and_b32 s41, vcc_lo, s10
	s_delay_alu instid0(SALU_CYCLE_1)
	s_and_saveexec_b32 s10, s41
	s_cbranch_execz .LBB2_560
; %bb.559:                              ;   in Loop: Header=BB2_447 Depth=3
	global_wb scope:SCOPE_SYS
	s_wait_storecnt 0x0
	s_wait_loadcnt_dscnt 0x0
	global_inv scope:SCOPE_SYS
.LBB2_560:                              ;   in Loop: Header=BB2_447 Depth=3
	s_or_b32 exec_lo, exec_lo, s10
	v_and_b32_e32 v9, 32, v82
	s_mov_b32 s10, exec_lo
	s_delay_alu instid0(VALU_DEP_1)
	v_cmpx_ne_u32_e32 0, v9
	s_cbranch_execz .LBB2_446
; %bb.561:                              ;   in Loop: Header=BB2_447 Depth=3
	v_add_nc_u64_e32 v[84:85], 2, v[84:85]
	global_wb scope:SCOPE_SYS
	s_wait_storecnt 0x0
	s_wait_loadcnt_dscnt 0x0
	flat_store_b64 v[18:19], v[84:85] scope:SCOPE_SYS
	s_branch .LBB2_446
.LBB2_562:                              ;   in Loop: Header=BB2_89 Depth=2
	s_or_b32 exec_lo, exec_lo, s28
.LBB2_563:                              ;   in Loop: Header=BB2_89 Depth=2
	s_delay_alu instid0(SALU_CYCLE_1) | instskip(NEXT) | instid1(SALU_CYCLE_1)
	s_or_b32 exec_lo, exec_lo, s27
	s_mov_b32 s27, exec_lo
	v_cmpx_gt_i32_e32 2, v9
	s_cbranch_execz .LBB2_88
; %bb.564:                              ;   in Loop: Header=BB2_89 Depth=2
	v_cmp_eq_u32_e64 s29, 0, v9
	s_mov_b32 s28, 0
	s_branch .LBB2_566
.LBB2_565:                              ;   in Loop: Header=BB2_566 Depth=3
	s_wait_xcnt 0x0
	s_or_b32 exec_lo, exec_lo, s10
	v_add_nc_u32_e32 v8, v117, v8
	s_mov_b32 s29, 0
	s_and_not1_b32 exec_lo, exec_lo, s28
	s_cbranch_execz .LBB2_87
.LBB2_566:                              ;   Parent Loop BB2_53 Depth=1
                                        ;     Parent Loop BB2_89 Depth=2
                                        ; =>    This Loop Header: Depth=3
                                        ;         Child Loop BB2_572 Depth 4
                                        ;         Child Loop BB2_596 Depth 4
	v_and_b32_e32 v9, 4, v82
	s_mov_b32 s40, exec_lo
	s_delay_alu instid0(VALU_DEP_1)
	v_cmpx_ne_u32_e32 0, v9
	s_cbranch_execz .LBB2_588
; %bb.567:                              ;   in Loop: Header=BB2_566 Depth=3
	v_add_nc_u64_e32 v[100:101], 2, v[84:85]
	s_mov_b32 s41, exec_lo
	s_wait_loadcnt 0x0
	s_delay_alu instid0(VALU_DEP_1)
	v_cmpx_lt_u64_e64 v[26:27], v[100:101]
	s_cbranch_execz .LBB2_579
; %bb.568:                              ;   in Loop: Header=BB2_566 Depth=3
	v_and_b32_e32 v9, 64, v82
	s_mov_b32 s42, 0
	s_mov_b32 s46, 0
                                        ; implicit-def: $sgpr43
                                        ; implicit-def: $sgpr44
                                        ; implicit-def: $sgpr45
	s_delay_alu instid0(VALU_DEP_1)
	v_cmp_eq_u32_e32 vcc_lo, 0, v9
	s_branch .LBB2_572
.LBB2_569:                              ;   in Loop: Header=BB2_572 Depth=4
	s_wait_loadcnt_dscnt 0x0
	v_cmp_ge_u64_e64 s10, v[26:27], v[100:101]
	s_or_b32 s57, s57, exec_lo
	s_or_not1_b32 s56, s10, exec_lo
.LBB2_570:                              ;   in Loop: Header=BB2_572 Depth=4
	s_or_b32 exec_lo, exec_lo, s59
	s_delay_alu instid0(SALU_CYCLE_1)
	s_and_not1_b32 s10, s45, exec_lo
	s_and_b32 s45, s57, exec_lo
	s_and_not1_b32 s44, s44, exec_lo
	s_and_b32 s56, s56, exec_lo
	s_or_b32 s45, s10, s45
	s_or_b32 s44, s44, s56
.LBB2_571:                              ;   in Loop: Header=BB2_572 Depth=4
	s_or_b32 exec_lo, exec_lo, s47
	s_delay_alu instid0(SALU_CYCLE_1) | instskip(NEXT) | instid1(SALU_CYCLE_1)
	s_and_b32 s10, exec_lo, s44
	s_or_b32 s42, s10, s42
	s_and_not1_b32 s10, s43, exec_lo
	s_and_b32 s43, s45, exec_lo
	s_delay_alu instid0(SALU_CYCLE_1)
	s_or_b32 s43, s10, s43
	s_and_not1_b32 exec_lo, exec_lo, s42
	s_cbranch_execz .LBB2_576
.LBB2_572:                              ;   Parent Loop BB2_53 Depth=1
                                        ;     Parent Loop BB2_89 Depth=2
                                        ;       Parent Loop BB2_566 Depth=3
                                        ; =>      This Inner Loop Header: Depth=4
	s_sleep 1
	s_wait_loadcnt_dscnt 0x0
	flat_load_b64 v[26:27], v[18:19] scope:SCOPE_SYS
	s_or_b32 s45, s45, exec_lo
	s_or_b32 s44, s44, exec_lo
                                        ; implicit-def: $vgpr9
	s_wait_xcnt 0x0
	s_and_saveexec_b32 s47, vcc_lo
	s_cbranch_execz .LBB2_571
; %bb.573:                              ;   in Loop: Header=BB2_572 Depth=4
	s_cmp_lt_i32 s46, 0x270f
	s_mov_b32 s56, -1
	s_cselect_b32 s58, -1, 0
	s_cmp_gt_i32 s46, 0x270e
	s_cbranch_scc0 .LBB2_575
; %bb.574:                              ;   in Loop: Header=BB2_572 Depth=4
	s_trap 2
	ds_load_b64 v[102:103], v0
	s_and_not1_b32 s46, s58, exec_lo
	s_mov_b32 s57, 0
	s_wait_storecnt 0x0
	s_wait_loadcnt_dscnt 0x0
	flat_load_b32 v9, v[102:103] scope:SCOPE_SYS
	s_wait_loadcnt_dscnt 0x0
	global_inv scope:SCOPE_SYS
	v_cmp_eq_u32_e64 s10, 0, v9
	s_and_b32 s10, s10, exec_lo
	s_delay_alu instid0(SALU_CYCLE_1)
	s_or_b32 s58, s46, s10
	s_mov_b32 s46, 0
	s_and_saveexec_b32 s59, s58
	s_cbranch_execz .LBB2_570
	s_branch .LBB2_569
.LBB2_575:                              ;   in Loop: Header=BB2_572 Depth=4
	s_add_co_i32 s46, s46, 1
	s_mov_b32 s57, -1
                                        ; implicit-def: $vgpr9
	s_and_saveexec_b32 s59, s58
	s_cbranch_execz .LBB2_570
	s_branch .LBB2_569
.LBB2_576:                              ;   in Loop: Header=BB2_566 Depth=3
	s_or_b32 exec_lo, exec_lo, s42
	s_xor_b32 s10, s43, -1
	s_delay_alu instid0(SALU_CYCLE_1) | instskip(NEXT) | instid1(SALU_CYCLE_1)
	s_and_saveexec_b32 s42, s10
	s_xor_b32 s10, exec_lo, s42
	s_cbranch_execz .LBB2_578
; %bb.577:                              ;   in Loop: Header=BB2_566 Depth=3
	v_or_b32_e32 v82, 64, v82
	s_wait_storecnt 0x0
	s_wait_loadcnt_dscnt 0x0
	ds_store_b32 v0, v9
	s_trap 2
.LBB2_578:                              ;   in Loop: Header=BB2_566 Depth=3
	s_or_b32 exec_lo, exec_lo, s10
.LBB2_579:                              ;   in Loop: Header=BB2_566 Depth=3
	s_delay_alu instid0(SALU_CYCLE_1)
	s_or_b32 exec_lo, exec_lo, s41
	v_and_b32_e32 v9, 0x100, v82
	v_and_b32_e32 v34, 7, v84
	s_mov_b32 s10, -1
	s_mov_b32 s41, exec_lo
	;;#ASMSTART
	s_wakeup
	;;#ASMEND
                                        ; implicit-def: $vgpr84_vgpr85
	v_cmpx_ne_u32_e32 0, v9
	s_cbranch_execz .LBB2_583
; %bb.580:                              ;   in Loop: Header=BB2_566 Depth=3
	v_mad_nc_u64_u32 v[102:103], v34, 24, v[4:5]
	s_mov_b32 s42, exec_lo
                                        ; implicit-def: $vgpr84_vgpr85
	flat_load_b32 v9, v[102:103]
	s_wait_loadcnt_dscnt 0x0
	v_cmp_ne_u32_e32 vcc_lo, 1, v9
	s_wait_xcnt 0x0
	v_cmpx_eq_u32_e32 1, v9
	s_cbranch_execz .LBB2_582
; %bb.581:                              ;   in Loop: Header=BB2_566 Depth=3
	flat_load_b32 v84, v[102:103] offset:4 scope:SCOPE_SYS
	s_wait_loadcnt_dscnt 0x0
	v_ashrrev_i32_e32 v85, 31, v84
.LBB2_582:                              ;   in Loop: Header=BB2_566 Depth=3
	s_wait_xcnt 0x0
	s_or_b32 exec_lo, exec_lo, s42
	s_delay_alu instid0(SALU_CYCLE_1)
	s_or_not1_b32 s10, vcc_lo, exec_lo
.LBB2_583:                              ;   in Loop: Header=BB2_566 Depth=3
	s_or_b32 exec_lo, exec_lo, s41
	s_and_saveexec_b32 s41, s10
; %bb.584:                              ;   in Loop: Header=BB2_566 Depth=3
	v_mul_u64_e32 v[84:85], v[34:35], v[20:21]
; %bb.585:                              ;   in Loop: Header=BB2_566 Depth=3
	s_or_b32 exec_lo, exec_lo, s41
	s_delay_alu instid0(VALU_DEP_1)
	v_add_nc_u64_e32 v[84:85], v[22:23], v[84:85]
	v_and_b32_e32 v9, 0x2000, v82
	s_mov_b32 s10, exec_lo
	ds_store_b64 v0, v[84:85] offset:720
	v_cmpx_ne_u32_e32 0, v9
	s_cbranch_execz .LBB2_587
; %bb.586:                              ;   in Loop: Header=BB2_566 Depth=3
	ds_load_b64 v[84:85], v0 offset:872
	s_wait_dscnt 0x0
	v_add_nc_u64_e32 v[84:85], 1, v[84:85]
	ds_store_b64 v0, v[84:85] offset:872
.LBB2_587:                              ;   in Loop: Header=BB2_566 Depth=3
	s_or_b32 exec_lo, exec_lo, s10
	v_mov_b64_e32 v[84:85], v[100:101]
.LBB2_588:                              ;   in Loop: Header=BB2_566 Depth=3
	s_or_b32 exec_lo, exec_lo, s40
	s_xor_b32 s10, s29, -1
	s_delay_alu instid0(SALU_CYCLE_1) | instskip(NEXT) | instid1(SALU_CYCLE_1)
	s_and_b32 s10, exec_lo, s10
	s_or_b32 s28, s10, s28
	s_and_saveexec_b32 s10, s1
	s_cbranch_execz .LBB2_607
; %bb.589:                              ;   in Loop: Header=BB2_566 Depth=3
	s_and_saveexec_b32 s29, s2
	s_delay_alu instid0(SALU_CYCLE_1)
	s_xor_b32 s29, exec_lo, s29
	s_cbranch_execz .LBB2_604
; %bb.590:                              ;   in Loop: Header=BB2_566 Depth=3
	s_and_saveexec_b32 s40, s5
	s_cbranch_execz .LBB2_603
; %bb.591:                              ;   in Loop: Header=BB2_566 Depth=3
	s_mov_b32 s42, exec_lo
	s_mov_b32 s41, exec_lo
	v_mbcnt_lo_u32_b32 v9, s42, 0
	global_wb scope:SCOPE_DEV
	s_wait_storecnt 0x0
	s_wait_loadcnt_dscnt 0x0
	global_inv scope:SCOPE_DEV
	v_cmpx_eq_u32_e32 0, v9
	s_cbranch_execz .LBB2_593
; %bb.592:                              ;   in Loop: Header=BB2_566 Depth=3
	s_bcnt1_i32_b32 s42, s42
	s_delay_alu instid0(SALU_CYCLE_1)
	v_mov_b32_e32 v34, s42
	s_wait_loadcnt 0x0
	ds_add_u64 v0, v[34:35]
	s_trap 2
.LBB2_593:                              ;   in Loop: Header=BB2_566 Depth=3
	s_or_b32 exec_lo, exec_lo, s41
	s_trap 2
	ds_load_b64 v[100:101], v0
	s_wait_dscnt 0x0
	v_add_nc_u64_e32 v[10:11], v[10:11], v[36:37]
	s_mov_b32 s41, exec_lo
	s_delay_alu instid0(VALU_DEP_1)
	v_cmpx_lt_u64_e64 v[100:101], v[10:11]
	s_cbranch_execz .LBB2_602
; %bb.594:                              ;   in Loop: Header=BB2_566 Depth=3
	s_mov_b32 s42, 0
	s_mov_b32 s45, 0
                                        ; implicit-def: $sgpr43
                                        ; implicit-def: $sgpr44
	s_branch .LBB2_596
.LBB2_595:                              ;   in Loop: Header=BB2_596 Depth=4
	s_or_b32 exec_lo, exec_lo, s47
	s_delay_alu instid0(SALU_CYCLE_1) | instskip(NEXT) | instid1(SALU_CYCLE_1)
	s_and_b32 s46, exec_lo, s56
	s_or_b32 s42, s46, s42
	s_and_not1_b32 s43, s43, exec_lo
	s_and_b32 s46, s44, exec_lo
	s_delay_alu instid0(SALU_CYCLE_1)
	s_or_b32 s43, s43, s46
	s_and_not1_b32 exec_lo, exec_lo, s42
	s_cbranch_execz .LBB2_600
.LBB2_596:                              ;   Parent Loop BB2_53 Depth=1
                                        ;     Parent Loop BB2_89 Depth=2
                                        ;       Parent Loop BB2_566 Depth=3
                                        ; =>      This Inner Loop Header: Depth=4
	s_add_co_i32 s45, s45, 1
	s_delay_alu instid0(SALU_CYCLE_1) | instskip(SKIP_1) | instid1(SALU_CYCLE_1)
	s_cmp_lg_u32 s45, 0x2710
	s_cselect_b32 s46, -1, 0
	s_and_b32 vcc_lo, exec_lo, s46
	s_cbranch_vccz .LBB2_598
; %bb.597:                              ;   in Loop: Header=BB2_596 Depth=4
	s_mov_b32 s56, -1
	s_or_b32 s44, s44, exec_lo
	s_and_saveexec_b32 s47, s46
	s_cbranch_execz .LBB2_595
	s_branch .LBB2_599
.LBB2_598:                              ;   in Loop: Header=BB2_596 Depth=4
	s_trap 2
	ds_load_b64 v[100:101], v0
	s_and_not1_b32 s46, s46, exec_lo
	s_mov_b32 s45, 0
	s_wait_loadcnt_dscnt 0x0
	flat_load_b32 v9, v[100:101] scope:SCOPE_SYS
	s_wait_loadcnt_dscnt 0x0
	global_inv scope:SCOPE_SYS
	v_cmp_eq_u32_e32 vcc_lo, 0, v9
	s_and_b32 s47, vcc_lo, exec_lo
	s_delay_alu instid0(SALU_CYCLE_1)
	s_or_b32 s46, s46, s47
	s_mov_b32 s56, -1
	s_or_b32 s44, s44, exec_lo
	s_and_saveexec_b32 s47, s46
	s_cbranch_execz .LBB2_595
.LBB2_599:                              ;   in Loop: Header=BB2_596 Depth=4
	s_sleep 1
	s_trap 2
	ds_load_b64 v[100:101], v0
	s_wait_dscnt 0x0
	s_and_not1_b32 s44, s44, exec_lo
	v_cmp_ge_u64_e32 vcc_lo, v[100:101], v[10:11]
	s_or_not1_b32 s56, vcc_lo, exec_lo
	s_branch .LBB2_595
.LBB2_600:                              ;   in Loop: Header=BB2_566 Depth=3
	s_or_b32 exec_lo, exec_lo, s42
	s_and_saveexec_b32 s42, s43
	s_delay_alu instid0(SALU_CYCLE_1)
	s_xor_b32 s42, exec_lo, s42
	s_cbranch_execz .LBB2_602
; %bb.601:                              ;   in Loop: Header=BB2_566 Depth=3
	ds_store_b32 v0, v57
	s_trap 2
.LBB2_602:                              ;   in Loop: Header=BB2_566 Depth=3
	s_or_b32 exec_lo, exec_lo, s41
	;;#ASMSTART
	s_wakeup
	;;#ASMEND
.LBB2_603:                              ;   in Loop: Header=BB2_566 Depth=3
	s_or_b32 exec_lo, exec_lo, s40
.LBB2_604:                              ;   in Loop: Header=BB2_566 Depth=3
	s_and_not1_saveexec_b32 s29, s29
	s_cbranch_execz .LBB2_606
; %bb.605:                              ;   in Loop: Header=BB2_566 Depth=3
	global_wb scope:SCOPE_DEV
	s_wait_storecnt 0x0
	s_wait_loadcnt_dscnt 0x0
	global_inv scope:SCOPE_DEV
	s_barrier_signal -1
	s_barrier_wait -1
.LBB2_606:                              ;   in Loop: Header=BB2_566 Depth=3
	s_or_b32 exec_lo, exec_lo, s29
.LBB2_607:                              ;   in Loop: Header=BB2_566 Depth=3
	s_delay_alu instid0(SALU_CYCLE_1)
	s_or_b32 exec_lo, exec_lo, s10
	s_trap 2
	ds_load_b32 v9, v0
	v_sub_nc_u32_e32 v34, v116, v8
	s_wait_dscnt 0x0
	v_readfirstlane_b32 s10, v9
	v_and_b32_e32 v9, 16, v82
	s_delay_alu instid0(VALU_DEP_3) | instskip(SKIP_1) | instid1(VALU_DEP_2)
	v_min_i32_e32 v117, v117, v34
	s_cmp_eq_u32 s10, 0
	v_cmp_ne_u32_e64 s10, 0, v9
	s_delay_alu instid0(VALU_DEP_2) | instskip(SKIP_1) | instid1(SALU_CYCLE_1)
	v_cmp_lt_i32_e32 vcc_lo, 0, v117
	s_cselect_b32 s29, -1, 0
	s_and_b32 s29, vcc_lo, s29
	s_delay_alu instid0(SALU_CYCLE_1) | instskip(NEXT) | instid1(SALU_CYCLE_1)
	s_and_b32 s29, s10, s29
	s_and_saveexec_b32 s10, s29
	s_cbranch_execz .LBB2_609
; %bb.608:                              ;   in Loop: Header=BB2_566 Depth=3
	global_wb scope:SCOPE_SYS
	s_wait_loadcnt 0x0
	s_wait_storecnt 0x0
	global_inv scope:SCOPE_SYS
.LBB2_609:                              ;   in Loop: Header=BB2_566 Depth=3
	s_or_b32 exec_lo, exec_lo, s10
	v_and_b32_e32 v9, 32, v82
	s_mov_b32 s10, exec_lo
	s_delay_alu instid0(VALU_DEP_1)
	v_cmpx_ne_u32_e32 0, v9
	s_cbranch_execz .LBB2_565
; %bb.610:                              ;   in Loop: Header=BB2_566 Depth=3
	v_add_nc_u64_e32 v[84:85], 2, v[84:85]
	global_wb scope:SCOPE_SYS
	s_wait_loadcnt 0x0
	s_wait_storecnt 0x0
	flat_store_b64 v[18:19], v[84:85] scope:SCOPE_SYS
	s_branch .LBB2_565
.LBB2_611:                              ;   in Loop: Header=BB2_53 Depth=1
	s_or_b32 exec_lo, exec_lo, s25
.LBB2_612:                              ;   in Loop: Header=BB2_53 Depth=1
	s_delay_alu instid0(SALU_CYCLE_1)
	s_or_b32 exec_lo, exec_lo, s24
.LBB2_613:                              ;   in Loop: Header=BB2_53 Depth=1
	s_delay_alu instid0(SALU_CYCLE_1)
	s_or_b32 exec_lo, exec_lo, s12
	s_add_co_i32 s10, s23, 1
	s_add_co_i32 s18, s18, 1
	s_cmp_eq_u32 s23, s20
	s_cbranch_scc1 .LBB2_615
; %bb.614:                              ;   in Loop: Header=BB2_53 Depth=1
	s_mov_b32 s23, s10
	s_branch .LBB2_53
.LBB2_615:
	v_and_b32_e32 v0, 0x800, v82
	s_mov_b32 s1, exec_lo
	s_delay_alu instid0(VALU_DEP_1)
	v_cmpx_eq_u32_e32 0, v0
	s_cbranch_execz .LBB2_648
; %bb.616:
	v_and_b32_e32 v0, 48, v82
	s_mov_b32 s0, exec_lo
	s_delay_alu instid0(VALU_DEP_1)
	v_cmpx_ne_u32_e32 0, v0
	s_cbranch_execz .LBB2_618
; %bb.617:
	flat_store_b64 v[16:17], v[84:85] offset:104
.LBB2_618:
	s_wait_xcnt 0x0
	s_or_b32 exec_lo, exec_lo, s0
	v_and_b32_e32 v0, 0x88, v82
	s_mov_b32 s2, exec_lo
	s_delay_alu instid0(VALU_DEP_1)
	v_cmpx_eq_u32_e32 0x88, v0
	s_cbranch_execz .LBB2_628
; %bb.619:
	v_add_nc_u32_e32 v0, 6, v84
	s_mov_b32 s3, 0
	s_delay_alu instid0(VALU_DEP_1) | instskip(NEXT) | instid1(VALU_DEP_1)
	v_and_b32_e32 v0, 7, v0
	v_mad_nc_u64_u32 v[2:3], v0, 24, v[4:5]
	v_and_b32_e32 v0, 64, v82
	s_delay_alu instid0(VALU_DEP_1)
	v_cmp_eq_u32_e64 s0, 0, v0
	flat_load_b64 v[4:5], v[2:3] offset:8 scope:SCOPE_SYS
	s_wait_loadcnt_dscnt 0x0
	v_cmp_ne_u64_e32 vcc_lo, -1, v[4:5]
	s_and_b32 s0, vcc_lo, s0
	s_wait_xcnt 0x0
	s_and_b32 exec_lo, exec_lo, s0
	s_cbranch_execz .LBB2_628
; %bb.620:
	s_mov_b32 s5, 0
                                        ; implicit-def: $sgpr0
                                        ; implicit-def: $sgpr4
	s_branch .LBB2_623
.LBB2_621:                              ;   in Loop: Header=BB2_623 Depth=1
	flat_load_b64 v[4:5], v[2:3] offset:8 scope:SCOPE_SYS
	s_wait_loadcnt 0x0
	s_and_not1_b32 s4, s4, exec_lo
	s_wait_dscnt 0x0
	v_cmp_eq_u64_e32 vcc_lo, -1, v[4:5]
	s_or_not1_b32 s7, vcc_lo, exec_lo
.LBB2_622:                              ;   in Loop: Header=BB2_623 Depth=1
	s_wait_xcnt 0x0
	s_or_b32 exec_lo, exec_lo, s10
	s_delay_alu instid0(SALU_CYCLE_1) | instskip(NEXT) | instid1(SALU_CYCLE_1)
	s_and_b32 s6, exec_lo, s7
	s_or_b32 s3, s6, s3
	s_and_not1_b32 s0, s0, exec_lo
	s_and_b32 s6, s4, exec_lo
	s_delay_alu instid0(SALU_CYCLE_1)
	s_or_b32 s0, s0, s6
	s_and_not1_b32 exec_lo, exec_lo, s3
	s_cbranch_execz .LBB2_626
.LBB2_623:                              ; =>This Inner Loop Header: Depth=1
	s_cmp_lt_i32 s5, 0x270f
	s_cselect_b32 s6, -1, 0
	s_delay_alu instid0(SALU_CYCLE_1)
	s_and_b32 vcc_lo, exec_lo, s6
	s_cbranch_vccnz .LBB2_625
; %bb.624:                              ;   in Loop: Header=BB2_623 Depth=1
	s_trap 2
	ds_load_b64 v[4:5], v0
	s_and_not1_b32 s6, s6, exec_lo
	s_mov_b32 s5, 0
	s_wait_storecnt_dscnt 0x0
	flat_load_b32 v0, v[4:5] scope:SCOPE_SYS
	s_wait_loadcnt_dscnt 0x0
	global_inv scope:SCOPE_SYS
	v_cmp_eq_u32_e32 vcc_lo, 0, v0
	s_and_b32 s7, vcc_lo, exec_lo
	s_delay_alu instid0(SALU_CYCLE_1)
	s_or_b32 s6, s6, s7
	s_mov_b32 s7, -1
	s_or_b32 s4, s4, exec_lo
	s_wait_xcnt 0x0
	s_and_saveexec_b32 s10, s6
	s_cbranch_execz .LBB2_622
	s_branch .LBB2_621
.LBB2_625:                              ;   in Loop: Header=BB2_623 Depth=1
	s_add_co_i32 s5, s5, 1
                                        ; implicit-def: $vgpr0
	s_mov_b32 s7, -1
	s_or_b32 s4, s4, exec_lo
	s_and_saveexec_b32 s10, s6
	s_cbranch_execz .LBB2_622
	s_branch .LBB2_621
.LBB2_626:
	s_or_b32 exec_lo, exec_lo, s3
	s_and_saveexec_b32 s3, s0
	s_delay_alu instid0(SALU_CYCLE_1)
	s_xor_b32 s3, exec_lo, s3
	s_cbranch_execz .LBB2_628
; %bb.627:
	s_wait_loadcnt 0x0
	s_wait_storecnt 0x0
	ds_store_b32 v0, v0
	s_trap 2
.LBB2_628:
	s_or_b32 exec_lo, exec_lo, s2
	v_and_b32_e32 v0, 0x2000, v82
	s_mov_b32 s0, exec_lo
	s_delay_alu instid0(VALU_DEP_1)
	v_cmpx_ne_u32_e32 0, v0
	s_cbranch_execz .LBB2_630
; %bb.629:
	s_trap 2
	ds_load_b64 v[2:3], v0
	s_wait_dscnt 0x0
	flat_store_b64 v[14:15], v[2:3] offset:16
.LBB2_630:
	s_wait_xcnt 0x0
	s_or_b32 exec_lo, exec_lo, s0
	v_cmp_ne_u32_e32 vcc_lo, 32, v1
	s_and_b32 exec_lo, exec_lo, vcc_lo
	s_cbranch_execz .LBB2_648
; %bb.631:
	s_mov_b32 s0, exec_lo
	v_cmpx_ne_u32_e64 v1, v56
	s_xor_b32 s0, exec_lo, s0
	s_cbranch_execz .LBB2_646
; %bb.632:
	v_and_b32_e32 v0, 31, v31
	s_mov_b32 s2, exec_lo
	s_delay_alu instid0(VALU_DEP_1)
	v_cmpx_eq_u32_e32 0, v0
	s_cbranch_execz .LBB2_645
; %bb.633:
	s_mov_b32 s4, exec_lo
	s_mov_b32 s3, exec_lo
	v_mbcnt_lo_u32_b32 v0, s4, 0
	global_wb scope:SCOPE_DEV
	s_wait_storecnt 0x0
	s_wait_loadcnt_dscnt 0x0
	global_inv scope:SCOPE_DEV
	v_cmpx_eq_u32_e32 0, v0
	s_cbranch_execz .LBB2_635
; %bb.634:
	s_bcnt1_i32_b32 s4, s4
	s_delay_alu instid0(SALU_CYCLE_1)
	v_dual_mov_b32 v3, 0 :: v_dual_mov_b32 v2, s4
	s_wait_loadcnt 0x0
	ds_add_u64 v0, v[2:3]
	s_trap 2
.LBB2_635:
	s_or_b32 exec_lo, exec_lo, s3
	s_trap 2
	ds_load_b64 v[2:3], v0
	s_wait_dscnt 0x0
	v_dual_mov_b32 v1, 0 :: v_dual_lshrrev_b32 v0, 5, v1
	s_mov_b32 s3, exec_lo
	s_delay_alu instid0(VALU_DEP_1) | instskip(NEXT) | instid1(VALU_DEP_1)
	v_add_nc_u64_e32 v[0:1], v[10:11], v[0:1]
	v_cmpx_lt_u64_e64 v[2:3], v[0:1]
	s_cbranch_execz .LBB2_644
; %bb.636:
	s_mov_b32 s4, 0
	s_mov_b32 s7, 0
                                        ; implicit-def: $sgpr5
                                        ; implicit-def: $sgpr6
	s_branch .LBB2_638
.LBB2_637:                              ;   in Loop: Header=BB2_638 Depth=1
	s_or_b32 exec_lo, exec_lo, s11
	s_delay_alu instid0(SALU_CYCLE_1) | instskip(NEXT) | instid1(SALU_CYCLE_1)
	s_and_b32 s10, exec_lo, s12
	s_or_b32 s4, s10, s4
	s_and_not1_b32 s5, s5, exec_lo
	s_and_b32 s10, s6, exec_lo
	s_delay_alu instid0(SALU_CYCLE_1)
	s_or_b32 s5, s5, s10
	s_and_not1_b32 exec_lo, exec_lo, s4
	s_cbranch_execz .LBB2_642
.LBB2_638:                              ; =>This Inner Loop Header: Depth=1
	s_add_co_i32 s7, s7, 1
	s_delay_alu instid0(SALU_CYCLE_1) | instskip(SKIP_1) | instid1(SALU_CYCLE_1)
	s_cmp_lg_u32 s7, 0x2710
	s_cselect_b32 s10, -1, 0
	s_and_b32 vcc_lo, exec_lo, s10
	s_cbranch_vccz .LBB2_640
; %bb.639:                              ;   in Loop: Header=BB2_638 Depth=1
	s_mov_b32 s12, -1
	s_or_b32 s6, s6, exec_lo
	s_and_saveexec_b32 s11, s10
	s_cbranch_execz .LBB2_637
	s_branch .LBB2_641
.LBB2_640:                              ;   in Loop: Header=BB2_638 Depth=1
	s_trap 2
	ds_load_b64 v[2:3], v0
	s_and_not1_b32 s10, s10, exec_lo
	s_mov_b32 s7, 0
	s_wait_loadcnt_dscnt 0x0
	flat_load_b32 v2, v[2:3] scope:SCOPE_SYS
	s_wait_loadcnt_dscnt 0x0
	global_inv scope:SCOPE_SYS
	v_cmp_eq_u32_e32 vcc_lo, 0, v2
	s_and_b32 s11, vcc_lo, exec_lo
	s_delay_alu instid0(SALU_CYCLE_1)
	s_or_b32 s10, s10, s11
	s_mov_b32 s12, -1
	s_or_b32 s6, s6, exec_lo
	s_and_saveexec_b32 s11, s10
	s_cbranch_execz .LBB2_637
.LBB2_641:                              ;   in Loop: Header=BB2_638 Depth=1
	s_sleep 1
	s_trap 2
	ds_load_b64 v[2:3], v0
	s_wait_dscnt 0x0
	s_and_not1_b32 s6, s6, exec_lo
	v_cmp_ge_u64_e32 vcc_lo, v[2:3], v[0:1]
	s_or_not1_b32 s12, vcc_lo, exec_lo
	s_branch .LBB2_637
.LBB2_642:
	s_or_b32 exec_lo, exec_lo, s4
	s_and_saveexec_b32 s4, s5
	s_delay_alu instid0(SALU_CYCLE_1)
	s_xor_b32 s4, exec_lo, s4
	s_cbranch_execz .LBB2_644
; %bb.643:
	v_mov_b32_e32 v0, 1
	ds_store_b32 v0, v0
	s_trap 2
.LBB2_644:
	s_or_b32 exec_lo, exec_lo, s3
	;;#ASMSTART
	s_wakeup
	;;#ASMEND
.LBB2_645:
	s_or_b32 exec_lo, exec_lo, s2
.LBB2_646:
	s_and_not1_saveexec_b32 s0, s0
	s_cbranch_execz .LBB2_648
; %bb.647:
	global_wb scope:SCOPE_DEV
	s_wait_storecnt 0x0
	s_wait_loadcnt_dscnt 0x0
	global_inv scope:SCOPE_DEV
	s_barrier_signal -1
	s_barrier_wait -1
.LBB2_648:
	s_or_b32 exec_lo, exec_lo, s1
.LBB2_649:
	s_and_not1_saveexec_b32 s21, s17
	s_cbranch_execz .LBB2_651
; %bb.650:
	s_get_pc_i64 s[0:1]
	s_add_nc_u64 s[0:1], s[0:1], __PRETTY_FUNCTION__._ZN10PrimitivesIa7FuncSumIaE12FanSymmetricILi1EELi0E11ProtoSimpleILi2ELi2ELi0ELi1ELi0ELi0EELi0ELb0ELi0ELi0ELi0EEC2EiiPKiS8_PKvPvmhhhP15ncclDevWorkCollP14ncclDevWorkP2pii@rel64+4
	s_get_pc_i64 s[2:3]
	s_add_nc_u64 s[2:3], s[2:3], __assert_fail@rel64+4
	v_dual_mov_b32 v0, s0 :: v_dual_mov_b32 v1, s1
	s_swap_pc_i64 s[30:31], s[2:3]
	; divergent unreachable
.LBB2_651:
	s_or_b32 exec_lo, exec_lo, s21
	s_clause 0x16
	scratch_load_b32 v78, off, s33
	scratch_load_b32 v77, off, s33 offset:4
	scratch_load_b32 v76, off, s33 offset:8
	;; [unrolled: 1-line block ×22, first 2 shown]
	v_readlane_b32 s30, v79, 0
	v_readlane_b32 s31, v79, 1
	s_mov_b32 s32, s33
	s_wait_xcnt 0x0
	s_or_saveexec_b32 s0, -1
	scratch_load_b32 v79, off, s33 offset:92 ; 4-byte Folded Reload
	s_wait_xcnt 0x0
	s_mov_b32 exec_lo, s0
	s_mov_b32 s33, s63
	s_wait_loadcnt_dscnt 0x0
	s_set_pc_i64 s[30:31]
.Lfunc_end2:
	.size	_ZN12_GLOBAL__N_17runRingIa7FuncSumIaE11ProtoSimpleILi2ELi2ELi0ELi1ELi0ELi0EELi0ELi1ELi0EEEviiP15ncclDevWorkColl, .Lfunc_end2-_ZN12_GLOBAL__N_17runRingIa7FuncSumIaE11ProtoSimpleILi2ELi2ELi0ELi1ELi0ELi0EELi0ELi1ELi0EEEviiP15ncclDevWorkColl
                                        ; -- End function
	.set .L_ZN12_GLOBAL__N_17runRingIa7FuncSumIaE11ProtoSimpleILi2ELi2ELi0ELi1ELi0ELi0EELi0ELi1ELi0EEEviiP15ncclDevWorkColl.num_vgpr, max(120, .L__assert_fail.num_vgpr)
	.set .L_ZN12_GLOBAL__N_17runRingIa7FuncSumIaE11ProtoSimpleILi2ELi2ELi0ELi1ELi0ELi0EELi0ELi1ELi0EEEviiP15ncclDevWorkColl.num_agpr, max(0, .L__assert_fail.num_agpr)
	.set .L_ZN12_GLOBAL__N_17runRingIa7FuncSumIaE11ProtoSimpleILi2ELi2ELi0ELi1ELi0ELi0EELi0ELi1ELi0EEEviiP15ncclDevWorkColl.numbered_sgpr, max(64, .L__assert_fail.numbered_sgpr)
	.set .L_ZN12_GLOBAL__N_17runRingIa7FuncSumIaE11ProtoSimpleILi2ELi2ELi0ELi1ELi0ELi0EELi0ELi1ELi0EEEviiP15ncclDevWorkColl.num_named_barrier, max(0, .L__assert_fail.num_named_barrier)
	.set .L_ZN12_GLOBAL__N_17runRingIa7FuncSumIaE11ProtoSimpleILi2ELi2ELi0ELi1ELi0ELi0EELi0ELi1ELi0EEEviiP15ncclDevWorkColl.private_seg_size, 112+max(.L__assert_fail.private_seg_size)
	.set .L_ZN12_GLOBAL__N_17runRingIa7FuncSumIaE11ProtoSimpleILi2ELi2ELi0ELi1ELi0ELi0EELi0ELi1ELi0EEEviiP15ncclDevWorkColl.uses_vcc, or(1, .L__assert_fail.uses_vcc)
	.set .L_ZN12_GLOBAL__N_17runRingIa7FuncSumIaE11ProtoSimpleILi2ELi2ELi0ELi1ELi0ELi0EELi0ELi1ELi0EEEviiP15ncclDevWorkColl.uses_flat_scratch, or(1, .L__assert_fail.uses_flat_scratch)
	.set .L_ZN12_GLOBAL__N_17runRingIa7FuncSumIaE11ProtoSimpleILi2ELi2ELi0ELi1ELi0ELi0EELi0ELi1ELi0EEEviiP15ncclDevWorkColl.has_dyn_sized_stack, or(0, .L__assert_fail.has_dyn_sized_stack)
	.set .L_ZN12_GLOBAL__N_17runRingIa7FuncSumIaE11ProtoSimpleILi2ELi2ELi0ELi1ELi0ELi0EELi0ELi1ELi0EEEviiP15ncclDevWorkColl.has_recursion, or(1, .L__assert_fail.has_recursion)
	.set .L_ZN12_GLOBAL__N_17runRingIa7FuncSumIaE11ProtoSimpleILi2ELi2ELi0ELi1ELi0ELi0EELi0ELi1ELi0EEEviiP15ncclDevWorkColl.has_indirect_call, or(0, .L__assert_fail.has_indirect_call)
	.section	.AMDGPU.csdata,"",@progbits
; Function info:
; codeLenInByte = 24176
; TotalNumSgprs: 66
; NumVgprs: 120
; ScratchSize: 176
; MemoryBound: 0
	.text
	.p2align	2                               ; -- Begin function _Z50ncclDevFunc_AlltoAllPivot_RING_SIMPLE_Sum_i8_0_0_1v
	.type	_Z50ncclDevFunc_AlltoAllPivot_RING_SIMPLE_Sum_i8_0_0_1v,@function
_Z50ncclDevFunc_AlltoAllPivot_RING_SIMPLE_Sum_i8_0_0_1v: ; @_Z50ncclDevFunc_AlltoAllPivot_RING_SIMPLE_Sum_i8_0_0_1v
; %bb.0:
	s_wait_loadcnt_dscnt 0x0
	s_wait_kmcnt 0x0
	s_mov_b32 s79, s33
	s_mov_b32 s33, s32
	s_or_saveexec_b32 s0, -1
	scratch_store_b32 off, v42, s33 offset:12 ; 4-byte Folded Spill
	s_wait_xcnt 0x0
	s_mov_b32 exec_lo, s0
	s_add_co_i32 s32, s32, 32
	s_clause 0x2
	scratch_store_b32 off, v40, s33 offset:8
	; meta instruction
	scratch_store_b32 off, v41, s33 offset:4
	; meta instruction
	scratch_store_b32 off, v79, s33
	v_writelane_b32 v42, s30, 0
	v_writelane_b32 v42, s31, 1
	s_trap 2
	ds_load_b32 v0, v0
	s_wait_xcnt 0x2
	v_mov_b32_e32 v40, v31
	s_wait_dscnt 0x0
	v_cmp_gt_i32_e32 vcc_lo, 1, v0
	s_cbranch_vccnz .LBB3_8
; %bb.1:
	s_wait_xcnt 0x1
	v_and_b32_e32 v41, 0x3ff, v40
	s_mov_b32 s74, s12
	s_mov_b64 s[72:73], s[8:9]
	s_mov_b32 s75, 0
	s_get_pc_i64 s[76:77]
	s_add_nc_u64 s[76:77], s[76:77], _ZN12_GLOBAL__N_17runRingIa7FuncSumIaE11ProtoSimpleILi2ELi2ELi0ELi1ELi0ELi0EELi0ELi1ELi0EEEviiP15ncclDevWorkColl@rel64+4
	s_branch .LBB3_3
.LBB3_2:                                ;   in Loop: Header=BB3_3 Depth=1
	s_or_b32 exec_lo, exec_lo, s78
	s_trap 2
	ds_load_b32 v0, v0
	s_add_co_i32 s75, s75, 1
	s_wait_dscnt 0x0
	v_cmp_lt_i32_e32 vcc_lo, s75, v0
	s_cbranch_vccz .LBB3_8
.LBB3_3:                                ; =>This Inner Loop Header: Depth=1
	s_trap 2
	ds_load_b32 v0, v0
	s_cmp_eq_u32 s75, 0
	s_cbranch_scc1 .LBB3_6
; %bb.4:                                ;   in Loop: Header=BB3_3 Depth=1
	s_trap 2
	s_wait_dscnt 0x0
	ds_load_b32 v1, v0
	s_wait_dscnt 0x0
	v_xor_b32_e32 v1, v1, v0
	s_delay_alu instid0(VALU_DEP_1) | instskip(NEXT) | instid1(VALU_DEP_1)
	v_and_b32_e32 v1, 0xff0000, v1
	v_cmp_eq_u32_e32 vcc_lo, 0, v1
	s_cbranch_vccnz .LBB3_6
; %bb.5:                                ;   in Loop: Header=BB3_3 Depth=1
	s_wait_storecnt 0x0
	s_barrier_signal -1
	s_barrier_wait -1
	ds_load_b32 v0, v0
.LBB3_6:                                ;   in Loop: Header=BB3_3 Depth=1
	s_wait_dscnt 0x0
	v_lshrrev_b32_e32 v0, 11, v0
	s_mov_b32 s78, exec_lo
	s_delay_alu instid0(VALU_DEP_1) | instskip(SKIP_1) | instid1(VALU_DEP_1)
	v_and_b32_e32 v1, 0x1fe0, v0
	s_wait_xcnt 0x0
	v_cmpx_lt_u32_e64 v41, v1
	s_cbranch_execz .LBB3_2
; %bb.7:                                ;   in Loop: Header=BB3_3 Depth=1
	s_mov_b64 s[0:1], src_shared_base
	v_dual_mov_b32 v31, v40 :: v_dual_mov_b32 v0, v41
	v_mov_b32_e32 v3, s1
	s_mov_b64 s[8:9], s[72:73]
	s_mov_b32 s12, s74
	s_swap_pc_i64 s[30:31], s[76:77]
	s_branch .LBB3_2
.LBB3_8:
	s_clause 0x2
	scratch_load_b32 v79, off, s33
	scratch_load_b32 v41, off, s33 offset:4
	scratch_load_b32 v40, off, s33 offset:8
	v_readlane_b32 s30, v42, 0
	v_readlane_b32 s31, v42, 1
	s_mov_b32 s32, s33
	s_wait_xcnt 0x0
	s_or_saveexec_b32 s0, -1
	scratch_load_b32 v42, off, s33 offset:12 ; 4-byte Folded Reload
	s_wait_xcnt 0x0
	s_mov_b32 exec_lo, s0
	s_mov_b32 s33, s79
	s_wait_loadcnt 0x0
	s_set_pc_i64 s[30:31]
.Lfunc_end3:
	.size	_Z50ncclDevFunc_AlltoAllPivot_RING_SIMPLE_Sum_i8_0_0_1v, .Lfunc_end3-_Z50ncclDevFunc_AlltoAllPivot_RING_SIMPLE_Sum_i8_0_0_1v
                                        ; -- End function
	.set .L_Z50ncclDevFunc_AlltoAllPivot_RING_SIMPLE_Sum_i8_0_0_1v.num_vgpr, max(80, .L_ZN12_GLOBAL__N_17runRingIa7FuncSumIaE11ProtoSimpleILi2ELi2ELi0ELi1ELi0ELi0EELi0ELi1ELi0EEEviiP15ncclDevWorkColl.num_vgpr)
	.set .L_Z50ncclDevFunc_AlltoAllPivot_RING_SIMPLE_Sum_i8_0_0_1v.num_agpr, max(0, .L_ZN12_GLOBAL__N_17runRingIa7FuncSumIaE11ProtoSimpleILi2ELi2ELi0ELi1ELi0ELi0EELi0ELi1ELi0EEEviiP15ncclDevWorkColl.num_agpr)
	.set .L_Z50ncclDevFunc_AlltoAllPivot_RING_SIMPLE_Sum_i8_0_0_1v.numbered_sgpr, max(80, .L_ZN12_GLOBAL__N_17runRingIa7FuncSumIaE11ProtoSimpleILi2ELi2ELi0ELi1ELi0ELi0EELi0ELi1ELi0EEEviiP15ncclDevWorkColl.numbered_sgpr)
	.set .L_Z50ncclDevFunc_AlltoAllPivot_RING_SIMPLE_Sum_i8_0_0_1v.num_named_barrier, max(0, .L_ZN12_GLOBAL__N_17runRingIa7FuncSumIaE11ProtoSimpleILi2ELi2ELi0ELi1ELi0ELi0EELi0ELi1ELi0EEEviiP15ncclDevWorkColl.num_named_barrier)
	.set .L_Z50ncclDevFunc_AlltoAllPivot_RING_SIMPLE_Sum_i8_0_0_1v.private_seg_size, 32+max(.L_ZN12_GLOBAL__N_17runRingIa7FuncSumIaE11ProtoSimpleILi2ELi2ELi0ELi1ELi0ELi0EELi0ELi1ELi0EEEviiP15ncclDevWorkColl.private_seg_size)
	.set .L_Z50ncclDevFunc_AlltoAllPivot_RING_SIMPLE_Sum_i8_0_0_1v.uses_vcc, or(1, .L_ZN12_GLOBAL__N_17runRingIa7FuncSumIaE11ProtoSimpleILi2ELi2ELi0ELi1ELi0ELi0EELi0ELi1ELi0EEEviiP15ncclDevWorkColl.uses_vcc)
	.set .L_Z50ncclDevFunc_AlltoAllPivot_RING_SIMPLE_Sum_i8_0_0_1v.uses_flat_scratch, or(1, .L_ZN12_GLOBAL__N_17runRingIa7FuncSumIaE11ProtoSimpleILi2ELi2ELi0ELi1ELi0ELi0EELi0ELi1ELi0EEEviiP15ncclDevWorkColl.uses_flat_scratch)
	.set .L_Z50ncclDevFunc_AlltoAllPivot_RING_SIMPLE_Sum_i8_0_0_1v.has_dyn_sized_stack, or(0, .L_ZN12_GLOBAL__N_17runRingIa7FuncSumIaE11ProtoSimpleILi2ELi2ELi0ELi1ELi0ELi0EELi0ELi1ELi0EEEviiP15ncclDevWorkColl.has_dyn_sized_stack)
	.set .L_Z50ncclDevFunc_AlltoAllPivot_RING_SIMPLE_Sum_i8_0_0_1v.has_recursion, or(1, .L_ZN12_GLOBAL__N_17runRingIa7FuncSumIaE11ProtoSimpleILi2ELi2ELi0ELi1ELi0ELi0EELi0ELi1ELi0EEEviiP15ncclDevWorkColl.has_recursion)
	.set .L_Z50ncclDevFunc_AlltoAllPivot_RING_SIMPLE_Sum_i8_0_0_1v.has_indirect_call, or(0, .L_ZN12_GLOBAL__N_17runRingIa7FuncSumIaE11ProtoSimpleILi2ELi2ELi0ELi1ELi0ELi0EELi0ELi1ELi0EEEviiP15ncclDevWorkColl.has_indirect_call)
	.section	.AMDGPU.csdata,"",@progbits
; Function info:
; codeLenInByte = 464
; TotalNumSgprs: 82
; NumVgprs: 120
; ScratchSize: 208
; MemoryBound: 0
	.text
	.p2align	2                               ; -- Begin function _ZN12_GLOBAL__N_17runRingIa7FuncSumIaE11ProtoSimpleILi2ELi2ELi0ELi2ELi0ELi0EELi0ELi2ELi0EEEviiP15ncclDevWorkColl
	.type	_ZN12_GLOBAL__N_17runRingIa7FuncSumIaE11ProtoSimpleILi2ELi2ELi0ELi2ELi0ELi0EELi0ELi2ELi0EEEviiP15ncclDevWorkColl,@function
_ZN12_GLOBAL__N_17runRingIa7FuncSumIaE11ProtoSimpleILi2ELi2ELi0ELi2ELi0ELi0EELi0ELi2ELi0EEEviiP15ncclDevWorkColl: ; @_ZN12_GLOBAL__N_17runRingIa7FuncSumIaE11ProtoSimpleILi2ELi2ELi0ELi2ELi0ELi0EELi0ELi2ELi0EEEviiP15ncclDevWorkColl
; %bb.0:
	s_wait_loadcnt_dscnt 0x0
	s_wait_kmcnt 0x0
	s_mov_b32 s63, s33
	s_mov_b32 s33, s32
	s_or_saveexec_b32 s0, -1
	scratch_store_b32 off, v93, s33 offset:116 ; 4-byte Folded Spill
	s_wait_xcnt 0x0
	s_mov_b32 exec_lo, s0
	s_addk_co_i32 s32, 0x80
	s_clause 0x1c
	scratch_store_b32 off, v40, s33 offset:112
	; meta instruction
	scratch_store_b32 off, v41, s33 offset:108
	; meta instruction
	;; [unrolled: 2-line block ×28, first 2 shown]
	scratch_store_b32 off, v92, s33
	v_writelane_b32 v93, s30, 0
	v_writelane_b32 v93, s31, 1
	s_trap 2
	s_clause 0x2
	flat_load_b32 v10, v[2:3]
	flat_load_b128 v[4:7], v[2:3] offset:72
	flat_load_b64 v[8:9], v[2:3] offset:88
	ds_load_b32 v15, v0
	s_mov_b32 s0, exec_lo
                                        ; implicit-def: $vgpr32_vgpr33
	s_wait_dscnt 0x0
	v_readfirstlane_b32 s16, v15
	s_wait_loadcnt 0x2
	v_and_b32_e32 v17, 0xff, v10
	v_bfe_u32 v18, v10, 8, 8
	s_wait_xcnt 0x0
	s_delay_alu instid0(VALU_DEP_2)
	v_cmpx_ne_u32_e64 v15, v17
	s_xor_b32 s0, exec_lo, s0
	s_cbranch_execz .LBB4_6
; %bb.1:
	flat_load_b64 v[10:11], v[2:3] offset:96
	s_mov_b32 s1, exec_lo
                                        ; implicit-def: $vgpr32_vgpr33
	s_wait_xcnt 0x0
	v_cmpx_ne_u32_e64 v15, v18
	s_xor_b32 s1, exec_lo, s1
	s_cbranch_execz .LBB4_3
; %bb.2:
	s_wait_loadcnt_dscnt 0x0
	v_lshrrev_b64 v[32:33], 12, v[10:11]
                                        ; implicit-def: $vgpr10_vgpr11
.LBB4_3:
	s_and_not1_saveexec_b32 s1, s1
	s_cbranch_execz .LBB4_5
; %bb.4:
	s_wait_loadcnt_dscnt 0x0
	v_lshrrev_b32_e32 v32, 1, v11
.LBB4_5:
	s_or_b32 exec_lo, exec_lo, s1
.LBB4_6:
	s_and_not1_saveexec_b32 s0, s0
	s_cbranch_execz .LBB4_8
; %bb.7:
	s_wait_loadcnt_dscnt 0x0
	flat_load_b64 v[10:11], v[2:3] offset:96
	s_wait_loadcnt_dscnt 0x0
	v_lshlrev_b64_e32 v[32:33], 9, v[10:11]
.LBB4_8:
	s_wait_xcnt 0x0
	s_or_b32 exec_lo, exec_lo, s0
	s_wait_loadcnt_dscnt 0x0
	flat_load_u16 v10, v[2:3] offset:8
	v_xad_u32 v11, v17, -1, v18
                                        ; implicit-def: $vgpr34_vgpr35
	v_dual_mov_b32 v29, 0 :: v_dual_sub_nc_u32 v15, v15, v17
	s_delay_alu instid0(VALU_DEP_2) | instskip(NEXT) | instid1(VALU_DEP_1)
	v_mad_nc_u64_u32 v[4:5], v6, v11, v[4:5]
	v_mad_u32 v5, v7, v11, v5
	v_ashrrev_i32_e32 v7, 31, v11
	s_delay_alu instid0(VALU_DEP_1) | instskip(NEXT) | instid1(VALU_DEP_1)
	v_mad_u32 v5, v6, v7, v5
	v_add_nc_u64_e32 v[12:13], v[4:5], v[8:9]
	s_delay_alu instid0(VALU_DEP_1) | instskip(NEXT) | instid1(VALU_DEP_1)
	v_sub_nc_u64_e32 v[4:5], 0, v[12:13]
	v_and_b32_e32 v5, v13, v5
	s_delay_alu instid0(VALU_DEP_2) | instskip(NEXT) | instid1(VALU_DEP_2)
	v_and_b32_e32 v4, v12, v4
	v_cvt_f64_u32_e32 v[6:7], v5
	s_delay_alu instid0(VALU_DEP_1) | instskip(SKIP_3) | instid1(VALU_DEP_2)
	v_ldexp_f64 v[6:7], v[6:7], 32
	s_wait_loadcnt_dscnt 0x0
	v_lshrrev_b32_e32 v21, 1, v10
	v_cvt_f64_u32_e32 v[4:5], v4
	v_lshlrev_b32_e32 v14, 1, v21
	s_delay_alu instid0(VALU_DEP_1) | instskip(NEXT) | instid1(VALU_DEP_1)
	v_dual_add_f64 v[4:5], v[6:7], v[4:5] :: v_dual_sub_nc_u32 v6, 0, v14
	v_min_num_f64_e32 v[4:5], 0x40700000, v[4:5]
	s_delay_alu instid0(VALU_DEP_1) | instskip(NEXT) | instid1(VALU_DEP_3)
	v_cvt_i32_f64_e32 v64, v[4:5]
	v_dual_mov_b32 v6, v29 :: v_dual_max_i32 v16, v14, v6
	s_delay_alu instid0(VALU_DEP_2) | instskip(NEXT) | instid1(VALU_DEP_2)
	v_ashrrev_i32_e32 v65, 31, v64
	v_cvt_f32_u32_e32 v4, v16
	s_delay_alu instid0(VALU_DEP_2) | instskip(NEXT) | instid1(VALU_DEP_2)
	v_dual_sub_nc_u32 v5, 0, v16 :: v_dual_bitop2_b32 v7, v13, v65 bitop3:0x54
	v_rcp_iflag_f32_e32 v4, v4
	s_delay_alu instid0(VALU_DEP_1) | instskip(SKIP_1) | instid1(TRANS32_DEP_1)
	v_cmp_ne_u64_e32 vcc_lo, 0, v[6:7]
	v_sub_nc_u32_e32 v6, 0, v15
	v_mul_f32_e32 v4, 0x4f7ffffe, v4
	s_delay_alu instid0(VALU_DEP_1) | instskip(NEXT) | instid1(VALU_DEP_1)
	v_cvt_u32_f32_e32 v4, v4
	v_mul_lo_u32 v5, v5, v4
	s_delay_alu instid0(VALU_DEP_1) | instskip(SKIP_2) | instid1(SALU_CYCLE_1)
	v_mul_hi_u32 v5, v4, v5
	s_wait_xcnt 0x0
	s_and_saveexec_b32 s0, vcc_lo
	s_xor_b32 s1, exec_lo, s0
	s_cbranch_execz .LBB4_10
; %bb.9:
	v_cvt_f32_u32_e32 v7, v64
	v_cvt_f32_u32_e32 v8, v65
	v_dual_mov_b32 v27, v29 :: v_dual_mov_b32 v25, v29
	s_delay_alu instid0(VALU_DEP_2) | instskip(NEXT) | instid1(VALU_DEP_1)
	v_fmamk_f32 v7, v8, 0x4f800000, v7
	v_rcp_f32_e32 v7, v7
	v_nop
	s_delay_alu instid0(TRANS32_DEP_1) | instskip(NEXT) | instid1(VALU_DEP_1)
	v_mul_f32_e32 v7, 0x5f7ffffc, v7
	v_mul_f32_e32 v8, 0x2f800000, v7
	s_delay_alu instid0(VALU_DEP_1) | instskip(SKIP_1) | instid1(VALU_DEP_2)
	v_trunc_f32_e32 v10, v8
	v_sub_nc_u64_e32 v[8:9], 0, v[64:65]
	v_cvt_u32_f32_e32 v11, v10
	s_delay_alu instid0(VALU_DEP_1) | instskip(NEXT) | instid1(VALU_DEP_1)
	v_dual_fmamk_f32 v7, v10, 0xcf800000, v7 :: v_dual_mov_b32 v26, v11
	v_cvt_u32_f32_e32 v28, v7
	s_delay_alu instid0(VALU_DEP_1) | instskip(NEXT) | instid1(VALU_DEP_1)
	v_mov_b32_e32 v10, v28
	v_mul_u64_e32 v[22:23], v[8:9], v[10:11]
	s_delay_alu instid0(VALU_DEP_1) | instskip(NEXT) | instid1(VALU_DEP_1)
	v_dual_mov_b32 v24, v23 :: v_dual_mov_b32 v23, v29
	v_mul_u64_e32 v[34:35], v[28:29], v[24:25]
	s_delay_alu instid0(VALU_DEP_2) | instskip(SKIP_2) | instid1(VALU_DEP_1)
	v_mul_u64_e32 v[36:37], v[26:27], v[22:23]
	v_mul_u64_e32 v[24:25], v[26:27], v[24:25]
	v_mul_hi_u32 v22, v28, v22
	v_add_nc_u64_e32 v[22:23], v[22:23], v[34:35]
	s_delay_alu instid0(VALU_DEP_1) | instskip(NEXT) | instid1(VALU_DEP_2)
	v_add_co_u32 v7, vcc_lo, v22, v36
	v_add_co_ci_u32_e32 v26, vcc_lo, v23, v37, vcc_lo
	v_add_co_ci_u32_e32 v25, vcc_lo, 0, v25, vcc_lo
	s_delay_alu instid0(VALU_DEP_1) | instskip(NEXT) | instid1(VALU_DEP_1)
	v_add_nc_u64_e32 v[22:23], v[26:27], v[24:25]
	v_add_co_u32 v10, vcc_lo, v28, v22
	s_delay_alu instid0(VALU_DEP_1) | instskip(NEXT) | instid1(VALU_DEP_1)
	v_add_co_ci_u32_e64 v28, null, v11, v23, vcc_lo
	v_dual_mov_b32 v23, v29 :: v_dual_mov_b32 v11, v28
	s_delay_alu instid0(VALU_DEP_1) | instskip(NEXT) | instid1(VALU_DEP_1)
	v_mul_u64_e32 v[8:9], v[8:9], v[10:11]
	v_dual_mov_b32 v11, v29 :: v_dual_mov_b32 v22, v9
	s_delay_alu instid0(VALU_DEP_2) | instskip(SKIP_1) | instid1(VALU_DEP_3)
	v_dual_mov_b32 v26, v8 :: v_dual_mov_b32 v9, v29
	v_mul_hi_u32 v8, v10, v8
	v_mul_u64_e32 v[24:25], v[10:11], v[22:23]
	s_delay_alu instid0(VALU_DEP_3) | instskip(SKIP_1) | instid1(VALU_DEP_3)
	v_mul_u64_e32 v[26:27], v[28:29], v[26:27]
	v_mul_u64_e32 v[22:23], v[28:29], v[22:23]
	v_add_nc_u64_e32 v[8:9], v[8:9], v[24:25]
	v_mov_b32_e32 v25, v29
	s_delay_alu instid0(VALU_DEP_2) | instskip(NEXT) | instid1(VALU_DEP_3)
	v_add_co_u32 v7, vcc_lo, v8, v26
	v_add_co_ci_u32_e32 v24, vcc_lo, v9, v27, vcc_lo
	v_add_co_ci_u32_e32 v23, vcc_lo, 0, v23, vcc_lo
	s_delay_alu instid0(VALU_DEP_1) | instskip(SKIP_1) | instid1(VALU_DEP_2)
	v_add_nc_u64_e32 v[8:9], v[24:25], v[22:23]
	v_dual_mov_b32 v22, v12 :: v_dual_mov_b32 v23, v29
	v_add_co_u32 v8, vcc_lo, v10, v8
	s_delay_alu instid0(VALU_DEP_1) | instskip(SKIP_1) | instid1(VALU_DEP_2)
	v_add_co_ci_u32_e64 v28, null, v28, v9, vcc_lo
	v_dual_mov_b32 v10, v13 :: v_dual_mov_b32 v9, v29
	v_mul_u64_e32 v[22:23], v[22:23], v[28:29]
	s_delay_alu instid0(VALU_DEP_2) | instskip(SKIP_2) | instid1(VALU_DEP_1)
	v_mul_u64_e32 v[24:25], v[10:11], v[8:9]
	v_mul_u64_e32 v[10:11], v[10:11], v[28:29]
	v_mul_hi_u32 v8, v12, v8
	v_add_nc_u64_e32 v[8:9], v[8:9], v[22:23]
	s_delay_alu instid0(VALU_DEP_1) | instskip(NEXT) | instid1(VALU_DEP_2)
	v_add_co_u32 v7, vcc_lo, v8, v24
	v_add_co_ci_u32_e32 v28, vcc_lo, v9, v25, vcc_lo
	v_add_co_ci_u32_e32 v11, vcc_lo, 0, v11, vcc_lo
	s_delay_alu instid0(VALU_DEP_1) | instskip(NEXT) | instid1(VALU_DEP_1)
	v_add_nc_u64_e32 v[8:9], v[28:29], v[10:11]
	v_mul_u64_e32 v[10:11], v[64:65], v[8:9]
	v_add_nc_u64_e32 v[22:23], 2, v[8:9]
	s_delay_alu instid0(VALU_DEP_2) | instskip(NEXT) | instid1(VALU_DEP_3)
	v_sub_nc_u32_e32 v7, v13, v11
	v_sub_co_u32 v10, vcc_lo, v12, v10
	s_delay_alu instid0(VALU_DEP_1) | instskip(NEXT) | instid1(VALU_DEP_3)
	v_sub_co_ci_u32_e64 v24, null, v13, v11, vcc_lo
	v_sub_co_ci_u32_e64 v7, null, v7, v65, vcc_lo
	s_delay_alu instid0(VALU_DEP_3) | instskip(SKIP_1) | instid1(VALU_DEP_3)
	v_sub_co_u32 v19, s0, v10, v64
	v_cmp_ge_u32_e32 vcc_lo, v10, v64
	v_subrev_co_ci_u32_e64 v7, null, 0, v7, s0
	s_delay_alu instid0(VALU_DEP_3) | instskip(SKIP_2) | instid1(VALU_DEP_4)
	v_cmp_ge_u32_e64 s0, v19, v64
	v_add_nc_u64_e32 v[10:11], 1, v[8:9]
	v_cndmask_b32_e64 v25, 0, -1, vcc_lo
	v_cmp_eq_u32_e32 vcc_lo, v7, v65
	s_delay_alu instid0(VALU_DEP_4) | instskip(SKIP_1) | instid1(VALU_DEP_1)
	v_cndmask_b32_e64 v19, 0, -1, s0
	v_cmp_ge_u32_e64 s0, v7, v65
	v_cndmask_b32_e64 v20, 0, -1, s0
	v_cmp_eq_u32_e64 s0, v24, v65
	s_delay_alu instid0(VALU_DEP_2) | instskip(SKIP_2) | instid1(VALU_DEP_3)
	v_cndmask_b32_e32 v7, v20, v19, vcc_lo
	v_cmp_ge_u32_e32 vcc_lo, v24, v65
	v_cndmask_b32_e64 v19, 0, -1, vcc_lo
	v_cmp_ne_u32_e32 vcc_lo, 0, v7
	v_dual_cndmask_b32 v10, v10, v22 :: v_dual_cndmask_b32 v11, v11, v23
	s_delay_alu instid0(VALU_DEP_3) | instskip(NEXT) | instid1(VALU_DEP_1)
	v_cndmask_b32_e64 v7, v19, v25, s0
	v_cmp_ne_u32_e32 vcc_lo, 0, v7
	s_delay_alu instid0(VALU_DEP_3)
	v_dual_cndmask_b32 v34, v8, v10 :: v_dual_cndmask_b32 v35, v9, v11
.LBB4_10:
	s_or_saveexec_b32 s0, s1
	s_delay_alu instid0(VALU_DEP_1)
	v_dual_add_nc_u32 v4, v4, v5 :: v_dual_max_i32 v28, v15, v6
	s_xor_b32 exec_lo, exec_lo, s0
	s_cbranch_execz .LBB4_12
; %bb.11:
	v_cvt_f32_u32_e32 v5, v64
	v_dual_mov_b32 v35, 0 :: v_dual_sub_nc_u32 v6, 0, v64
	s_delay_alu instid0(VALU_DEP_2) | instskip(SKIP_1) | instid1(TRANS32_DEP_1)
	v_rcp_iflag_f32_e32 v5, v5
	v_nop
	v_mul_f32_e32 v5, 0x4f7ffffe, v5
	s_delay_alu instid0(VALU_DEP_1) | instskip(NEXT) | instid1(VALU_DEP_1)
	v_cvt_u32_f32_e32 v5, v5
	v_mul_lo_u32 v6, v6, v5
	s_delay_alu instid0(VALU_DEP_1) | instskip(NEXT) | instid1(VALU_DEP_1)
	v_mul_hi_u32 v6, v5, v6
	v_add_nc_u32_e32 v5, v5, v6
	s_delay_alu instid0(VALU_DEP_1) | instskip(NEXT) | instid1(VALU_DEP_1)
	v_mul_hi_u32 v5, v12, v5
	v_mul_lo_u32 v6, v5, v64
	s_delay_alu instid0(VALU_DEP_1) | instskip(NEXT) | instid1(VALU_DEP_1)
	v_dual_sub_nc_u32 v6, v12, v6 :: v_dual_add_nc_u32 v7, 1, v5
	v_sub_nc_u32_e32 v8, v6, v64
	v_cmp_ge_u32_e32 vcc_lo, v6, v64
	s_delay_alu instid0(VALU_DEP_2) | instskip(NEXT) | instid1(VALU_DEP_1)
	v_dual_cndmask_b32 v6, v6, v8 :: v_dual_cndmask_b32 v5, v5, v7
	v_cmp_ge_u32_e32 vcc_lo, v6, v64
	s_delay_alu instid0(VALU_DEP_2) | instskip(NEXT) | instid1(VALU_DEP_1)
	v_add_nc_u32_e32 v7, 1, v5
	v_cndmask_b32_e32 v34, v5, v7, vcc_lo
.LBB4_12:
	s_or_b32 exec_lo, exec_lo, s0
	v_sub_nc_u32_e32 v5, v18, v17
                                        ; implicit-def: $vgpr50_vgpr51
	s_mov_b32 s0, exec_lo
	v_mov_b32_e32 v10, 0
	s_delay_alu instid0(VALU_DEP_2) | instskip(NEXT) | instid1(VALU_DEP_1)
	v_add_nc_u16 v5, v5, 1
	v_lshrrev_b16 v6, 15, v5
	s_delay_alu instid0(VALU_DEP_1) | instskip(NEXT) | instid1(VALU_DEP_1)
	v_add_nc_u16 v5, v5, v6
	v_ashrrev_i16 v5, 1, v5
	s_delay_alu instid0(VALU_DEP_1) | instskip(NEXT) | instid1(VALU_DEP_1)
	v_bfe_i32 v36, v5, 0, 16
	v_dual_mov_b32 v5, v29 :: v_dual_ashrrev_i32 v37, 31, v36
	s_delay_alu instid0(VALU_DEP_1) | instskip(NEXT) | instid1(VALU_DEP_1)
	v_or_b32_e32 v11, v35, v37
	v_cmpx_ne_u64_e32 0, v[10:11]
	s_xor_b32 s1, exec_lo, s0
	s_cbranch_execz .LBB4_14
; %bb.13:
	v_dual_mov_b32 v19, v10 :: v_dual_ashrrev_i32 v6, 31, v37
	v_dual_mov_b32 v39, v10 :: v_dual_mov_b32 v49, v10
	s_delay_alu instid0(VALU_DEP_2) | instskip(NEXT) | instid1(VALU_DEP_1)
	v_mov_b32_e32 v7, v6
	v_add_nc_u64_e32 v[8:9], v[36:37], v[6:7]
	s_delay_alu instid0(VALU_DEP_1) | instskip(NEXT) | instid1(VALU_DEP_2)
	v_xor_b32_e32 v8, v8, v6
	v_xor_b32_e32 v9, v9, v6
	s_delay_alu instid0(VALU_DEP_2) | instskip(NEXT) | instid1(VALU_DEP_2)
	v_cvt_f32_u32_e32 v7, v8
	v_cvt_f32_u32_e32 v11, v9
	s_delay_alu instid0(VALU_DEP_1) | instskip(NEXT) | instid1(VALU_DEP_1)
	v_fmamk_f32 v7, v11, 0x4f800000, v7
	v_rcp_f32_e32 v7, v7
	v_nop
	s_delay_alu instid0(TRANS32_DEP_1) | instskip(NEXT) | instid1(VALU_DEP_1)
	v_mul_f32_e32 v7, 0x5f7ffffc, v7
	v_mul_f32_e32 v11, 0x2f800000, v7
	s_delay_alu instid0(VALU_DEP_1) | instskip(NEXT) | instid1(VALU_DEP_1)
	v_trunc_f32_e32 v11, v11
	v_fmamk_f32 v7, v11, 0xcf800000, v7
	v_cvt_u32_f32_e32 v25, v11
	v_mov_b32_e32 v11, v10
	s_delay_alu instid0(VALU_DEP_3) | instskip(NEXT) | instid1(VALU_DEP_1)
	v_cvt_u32_f32_e32 v18, v7
	v_dual_mov_b32 v48, v25 :: v_dual_mov_b32 v24, v18
	v_sub_nc_u64_e32 v[22:23], 0, v[8:9]
	s_delay_alu instid0(VALU_DEP_1) | instskip(NEXT) | instid1(VALU_DEP_1)
	v_mul_u64_e32 v[26:27], v[22:23], v[24:25]
	v_dual_mov_b32 v38, v27 :: v_dual_mov_b32 v27, v10
	s_delay_alu instid0(VALU_DEP_1) | instskip(NEXT) | instid1(VALU_DEP_2)
	v_mul_u64_e32 v[50:51], v[18:19], v[38:39]
	v_mul_u64_e32 v[52:53], v[48:49], v[26:27]
	;; [unrolled: 1-line block ×3, first 2 shown]
	v_mul_hi_u32 v26, v18, v26
	s_delay_alu instid0(VALU_DEP_1) | instskip(SKIP_1) | instid1(VALU_DEP_2)
	v_add_nc_u64_e32 v[26:27], v[26:27], v[50:51]
	v_ashrrev_i32_e32 v50, 31, v35
	v_add_co_u32 v7, vcc_lo, v26, v52
	s_delay_alu instid0(VALU_DEP_3) | instskip(SKIP_1) | instid1(VALU_DEP_1)
	v_add_co_ci_u32_e32 v48, vcc_lo, v27, v53, vcc_lo
	v_add_co_ci_u32_e32 v39, vcc_lo, 0, v39, vcc_lo
	v_add_nc_u64_e32 v[26:27], v[48:49], v[38:39]
	s_delay_alu instid0(VALU_DEP_1) | instskip(NEXT) | instid1(VALU_DEP_1)
	v_add_co_u32 v18, vcc_lo, v18, v26
	v_add_co_ci_u32_e64 v24, null, v25, v27, vcc_lo
	v_dual_mov_b32 v27, v10 :: v_dual_mov_b32 v25, v10
	s_delay_alu instid0(VALU_DEP_2) | instskip(NEXT) | instid1(VALU_DEP_1)
	v_mov_b32_e32 v19, v24
	v_mul_u64_e32 v[22:23], v[22:23], v[18:19]
	s_delay_alu instid0(VALU_DEP_1) | instskip(NEXT) | instid1(VALU_DEP_2)
	v_dual_mov_b32 v19, v10 :: v_dual_mov_b32 v26, v23
	v_dual_mov_b32 v48, v22 :: v_dual_mov_b32 v23, v10
	v_mul_hi_u32 v22, v18, v22
	s_delay_alu instid0(VALU_DEP_3) | instskip(NEXT) | instid1(VALU_DEP_3)
	v_mul_u64_e32 v[38:39], v[18:19], v[26:27]
	v_mul_u64_e32 v[48:49], v[24:25], v[48:49]
	v_mul_u64_e32 v[26:27], v[24:25], v[26:27]
	s_delay_alu instid0(VALU_DEP_3) | instskip(SKIP_1) | instid1(VALU_DEP_2)
	v_add_nc_u64_e32 v[22:23], v[22:23], v[38:39]
	v_dual_mov_b32 v39, v10 :: v_dual_mov_b32 v51, v50
	v_add_co_u32 v7, vcc_lo, v22, v48
	s_delay_alu instid0(VALU_DEP_3) | instskip(SKIP_1) | instid1(VALU_DEP_1)
	v_add_co_ci_u32_e32 v38, vcc_lo, v23, v49, vcc_lo
	v_add_co_ci_u32_e32 v27, vcc_lo, 0, v27, vcc_lo
	v_add_nc_u64_e32 v[26:27], v[38:39], v[26:27]
	s_delay_alu instid0(VALU_DEP_1) | instskip(NEXT) | instid1(VALU_DEP_1)
	v_add_co_u32 v26, vcc_lo, v18, v26
	v_add_co_ci_u32_e64 v18, null, v24, v27, vcc_lo
	v_mov_b32_e32 v27, v10
	v_add_nc_u64_e32 v[22:23], v[34:35], v[50:51]
	s_delay_alu instid0(VALU_DEP_1) | instskip(NEXT) | instid1(VALU_DEP_2)
	v_xor_b32_e32 v24, v23, v50
	v_xor_b32_e32 v38, v22, v50
	s_delay_alu instid0(VALU_DEP_2) | instskip(NEXT) | instid1(VALU_DEP_2)
	v_mul_u64_e32 v[22:23], v[24:25], v[26:27]
	v_mul_u64_e32 v[48:49], v[38:39], v[18:19]
	;; [unrolled: 1-line block ×3, first 2 shown]
	v_mul_hi_u32 v26, v38, v26
	s_delay_alu instid0(VALU_DEP_1) | instskip(NEXT) | instid1(VALU_DEP_1)
	v_add_nc_u64_e32 v[26:27], v[26:27], v[48:49]
	v_add_co_u32 v7, vcc_lo, v26, v22
	s_delay_alu instid0(VALU_DEP_2) | instskip(SKIP_1) | instid1(VALU_DEP_1)
	v_add_co_ci_u32_e32 v10, vcc_lo, v27, v23, vcc_lo
	v_add_co_ci_u32_e32 v19, vcc_lo, 0, v19, vcc_lo
	v_add_nc_u64_e32 v[10:11], v[10:11], v[18:19]
	s_delay_alu instid0(VALU_DEP_1) | instskip(SKIP_1) | instid1(VALU_DEP_2)
	v_mul_u64_e32 v[18:19], v[8:9], v[10:11]
	v_add_nc_u64_e32 v[22:23], 1, v[10:11]
	v_sub_nc_u32_e32 v7, v24, v19
	s_delay_alu instid0(VALU_DEP_3) | instskip(NEXT) | instid1(VALU_DEP_1)
	v_sub_co_u32 v17, vcc_lo, v38, v18
	v_sub_co_ci_u32_e64 v20, null, v24, v19, vcc_lo
	s_delay_alu instid0(VALU_DEP_3) | instskip(NEXT) | instid1(VALU_DEP_3)
	v_sub_co_ci_u32_e64 v7, null, v7, v9, vcc_lo
	v_sub_co_u32 v18, s0, v17, v8
	s_delay_alu instid0(VALU_DEP_1) | instskip(NEXT) | instid1(VALU_DEP_2)
	v_subrev_co_ci_u32_e64 v7, null, 0, v7, s0
	v_cmp_ge_u32_e32 vcc_lo, v18, v8
	v_cndmask_b32_e64 v18, 0, -1, vcc_lo
	s_delay_alu instid0(VALU_DEP_3)
	v_cmp_ge_u32_e32 vcc_lo, v7, v9
	v_cndmask_b32_e64 v19, 0, -1, vcc_lo
	v_cmp_ge_u32_e32 vcc_lo, v17, v8
	v_cndmask_b32_e64 v8, 0, -1, vcc_lo
	;; [unrolled: 2-line block ×3, first 2 shown]
	v_cmp_eq_u32_e32 vcc_lo, v7, v9
	v_cndmask_b32_e32 v7, v19, v18, vcc_lo
	v_cmp_eq_u32_e32 vcc_lo, v20, v9
	v_add_nc_u64_e32 v[18:19], 2, v[10:11]
	v_cndmask_b32_e32 v8, v17, v8, vcc_lo
	s_delay_alu instid0(VALU_DEP_4) | instskip(NEXT) | instid1(VALU_DEP_2)
	v_cmp_ne_u32_e32 vcc_lo, 0, v7
	v_cmp_ne_u32_e64 s0, 0, v8
	s_delay_alu instid0(VALU_DEP_4) | instskip(NEXT) | instid1(VALU_DEP_1)
	v_dual_cndmask_b32 v7, v23, v19 :: v_dual_cndmask_b32 v8, v22, v18
	v_dual_cndmask_b32 v9, v11, v7, s0 :: v_dual_bitop2_b32 v6, v50, v6 bitop3:0x14
	s_delay_alu instid0(VALU_DEP_1) | instskip(NEXT) | instid1(VALU_DEP_1)
	v_dual_cndmask_b32 v8, v10, v8, s0 :: v_dual_bitop2_b32 v9, v9, v6 bitop3:0x14
	v_dual_mov_b32 v7, v6 :: v_dual_bitop2_b32 v8, v8, v6 bitop3:0x14
	s_delay_alu instid0(VALU_DEP_1)
	v_sub_nc_u64_e32 v[50:51], v[8:9], v[6:7]
.LBB4_14:
	s_or_saveexec_b32 s0, s1
	v_mul_u64_e32 v[4:5], v[28:29], v[4:5]
	s_xor_b32 exec_lo, exec_lo, s0
	s_cbranch_execz .LBB4_16
; %bb.15:
	v_cvt_f32_u32_e32 v4, v36
	v_dual_mov_b32 v51, 0 :: v_dual_sub_nc_u32 v6, 0, v36
	s_delay_alu instid0(VALU_DEP_2) | instskip(SKIP_1) | instid1(TRANS32_DEP_1)
	v_rcp_iflag_f32_e32 v4, v4
	v_nop
	v_mul_f32_e32 v4, 0x4f7ffffe, v4
	s_delay_alu instid0(VALU_DEP_1) | instskip(NEXT) | instid1(VALU_DEP_1)
	v_cvt_u32_f32_e32 v4, v4
	v_mul_lo_u32 v6, v6, v4
	s_delay_alu instid0(VALU_DEP_1) | instskip(NEXT) | instid1(VALU_DEP_1)
	v_mul_hi_u32 v6, v4, v6
	v_add_nc_u32_e32 v4, v4, v6
	s_delay_alu instid0(VALU_DEP_1) | instskip(NEXT) | instid1(VALU_DEP_1)
	v_mul_hi_u32 v4, v34, v4
	v_mul_lo_u32 v6, v4, v36
	s_delay_alu instid0(VALU_DEP_1) | instskip(NEXT) | instid1(VALU_DEP_1)
	v_dual_add_nc_u32 v7, 1, v4 :: v_dual_sub_nc_u32 v6, v34, v6
	v_cmp_ge_u32_e32 vcc_lo, v6, v36
	s_delay_alu instid0(VALU_DEP_2) | instskip(NEXT) | instid1(VALU_DEP_1)
	v_cndmask_b32_e32 v4, v4, v7, vcc_lo
	v_add_nc_u32_e32 v7, 1, v4
	v_sub_nc_u32_e32 v8, v6, v36
	s_delay_alu instid0(VALU_DEP_1) | instskip(NEXT) | instid1(VALU_DEP_1)
	v_cndmask_b32_e32 v6, v6, v8, vcc_lo
	v_cmp_ge_u32_e32 vcc_lo, v6, v36
	s_delay_alu instid0(VALU_DEP_4)
	v_cndmask_b32_e32 v50, v4, v7, vcc_lo
.LBB4_16:
	s_or_b32 exec_lo, exec_lo, s0
	s_trap 2
	ds_load_b64 v[6:7], v0
	v_mul_lo_u32 v4, v5, v16
	s_mov_b32 s3, 0
	s_mov_b32 s4, exec_lo
	s_delay_alu instid0(VALU_DEP_1) | instskip(SKIP_4) | instid1(VALU_DEP_2)
	v_sub_nc_u32_e32 v8, v28, v4
	s_wait_dscnt 0x0
	v_cmp_ne_u32_e32 vcc_lo, -1, v6
	v_cndmask_b32_e64 v30, 0, 1, vcc_lo
	v_cmp_ne_u32_e32 vcc_lo, -1, v7
	v_add_co_ci_u32_e64 v4, null, 0, v30, vcc_lo
	s_delay_alu instid0(VALU_DEP_1) | instskip(SKIP_2) | instid1(VALU_DEP_1)
	v_lshlrev_b32_e32 v7, 1, v4
	v_sub_nc_u32_e32 v6, v8, v16
	v_cmp_ge_u32_e64 s1, v8, v16
	v_cndmask_b32_e64 v6, v8, v6, s1
	s_delay_alu instid0(VALU_DEP_1)
	v_cmp_ge_u32_e64 s0, v6, v16
	v_cmpx_le_u32_e64 v7, v1
	s_xor_b32 s17, exec_lo, s4
	s_cbranch_execz .LBB4_649
; %bb.17:
	flat_load_b128 v[8:11], v[2:3] offset:16
	s_trap 2
	s_load_b32 s2, s[8:9], 0x0
	s_bfe_u32 s4, ttmp6, 0x4000c
	s_and_b32 s5, ttmp6, 15
	s_add_co_i32 s4, s4, 1
	s_getreg_b32 s6, hwreg(HW_REG_IB_STS2, 6, 4)
	s_mul_i32 s4, ttmp9, s4
	v_dual_mov_b32 v39, 0 :: v_dual_add_nc_u32 v6, 1, v5
	s_add_co_i32 s5, s5, s4
	s_cmp_eq_u32 s6, 0
	v_ashrrev_i32_e32 v33, 31, v15
	s_cselect_b32 s4, ttmp9, s5
	v_cndmask_b32_e64 v5, v5, v6, s1
	v_bfe_i32 v6, v21, 30, 1
	v_cvt_f32_u32_e32 v16, v21
	v_mov_b32_e32 v80, 4
	s_mov_b32 s1, exec_lo
	s_delay_alu instid0(VALU_DEP_3) | instskip(SKIP_3) | instid1(VALU_DEP_1)
	v_dual_add_nc_u32 v7, 1, v5 :: v_dual_bitop2_b32 v6, v33, v6 bitop3:0x14
	s_wait_kmcnt 0x0
	s_cmp_lt_u32 s4, s2
	s_cselect_b32 s2, 12, 18
	v_cndmask_b32_e64 v5, v5, v7, s0
	s_add_nc_u64 s[2:3], s[8:9], s[2:3]
	v_rcp_iflag_f32_e32 v7, v16
	global_load_u16 v55, v39, s[2:3]
	ds_load_b32 v16, v0
	v_xor_b32_e32 v5, v5, v6
	s_delay_alu instid0(VALU_DEP_1) | instskip(SKIP_1) | instid1(VALU_DEP_2)
	v_dual_mul_f32 v5, 0x4f7ffffe, v7 :: v_dual_sub_nc_u32 v54, v5, v6
	v_sub_nc_u32_e32 v6, 0, v21
	v_mul_lo_u32 v7, v54, v14
	s_delay_alu instid0(VALU_DEP_3) | instskip(NEXT) | instid1(VALU_DEP_1)
	v_cvt_u32_f32_e32 v5, v5
	v_mul_lo_u32 v6, v6, v5
	s_wait_dscnt 0x0
	v_readfirstlane_b32 s5, v16
	s_delay_alu instid0(VALU_DEP_4)
	v_sub_nc_u32_e32 v66, v15, v7
	s_wait_xcnt 0x0
	v_cmpx_ge_i32_e64 v0, v30
	s_cbranch_execz .LBB4_27
; %bb.18:
	v_cmp_ge_u32_e64 s0, v0, v4
                                        ; implicit-def: $vgpr80
	s_and_saveexec_b32 s2, s0
	s_delay_alu instid0(SALU_CYCLE_1)
	s_xor_b32 s0, exec_lo, s2
	s_cbranch_execz .LBB4_24
; %bb.19:
	v_cndmask_b32_e64 v7, 0, 1, vcc_lo
	s_mov_b32 s2, exec_lo
	s_delay_alu instid0(VALU_DEP_1) | instskip(NEXT) | instid1(VALU_DEP_1)
	v_sub_nc_u32_e32 v7, v1, v7
	v_cmpx_ge_u32_e64 v0, v7
	s_xor_b32 s2, exec_lo, s2
; %bb.20:
                                        ; implicit-def: $vgpr4
; %bb.21:
	s_delay_alu instid0(SALU_CYCLE_1)
	s_or_saveexec_b32 s2, s2
	v_mov_b32_e32 v80, 16
	s_xor_b32 exec_lo, exec_lo, s2
; %bb.22:
	v_sub_nc_u32_e32 v4, v1, v4
	s_delay_alu instid0(VALU_DEP_1)
	v_cmp_lt_i32_e32 vcc_lo, v0, v4
	v_cndmask_b32_e64 v80, 32, 0, vcc_lo
; %bb.23:
	s_or_b32 exec_lo, exec_lo, s2
.LBB4_24:
	s_and_not1_saveexec_b32 s0, s0
; %bb.25:
	v_mov_b32_e32 v80, 8
; %bb.26:
	s_or_b32 exec_lo, exec_lo, s0
.LBB4_27:
	s_delay_alu instid0(SALU_CYCLE_1) | instskip(SKIP_1) | instid1(VALU_DEP_2)
	s_or_b32 exec_lo, exec_lo, s1
	v_mul_hi_u32 v4, v5, v6
	v_dual_sub_nc_u32 v7, 0, v66 :: v_dual_bitop2_b32 v6, 36, v80 bitop3:0x40
	v_mov_b32_e32 v67, -1
	s_delay_alu instid0(VALU_DEP_2)
	v_cmp_ne_u32_e32 vcc_lo, 0, v6
	s_and_saveexec_b32 s0, vcc_lo
	s_cbranch_execz .LBB4_29
; %bb.28:
	s_trap 2
	ds_load_b32 v67, v0
.LBB4_29:
	s_or_b32 exec_lo, exec_lo, s0
	v_and_b32_e32 v14, 24, v80
	v_dual_add_nc_u32 v6, v5, v4 :: v_dual_max_i32 v38, v66, v7
	s_mov_b32 s1, exec_lo
	s_delay_alu instid0(VALU_DEP_2)
	v_cmpx_ne_u32_e32 0, v14
	s_cbranch_execz .LBB4_31
; %bb.30:
	s_trap 2
	s_wait_dscnt 0x0
	ds_load_b32 v67, v0
.LBB4_31:
	s_or_b32 exec_lo, exec_lo, s1
	v_mov_b64_e32 v[16:17], 0
	v_mov_b64_e32 v[4:5], 0
	v_mov_b32_e32 v7, v29
                                        ; implicit-def: $vgpr14_vgpr15
                                        ; implicit-def: $vgpr20
                                        ; implicit-def: $vgpr26_vgpr27
                                        ; implicit-def: $vgpr82_vgpr83
                                        ; implicit-def: $vgpr22_vgpr23
                                        ; implicit-def: $vgpr18_vgpr19
	s_and_saveexec_b32 s0, vcc_lo
	s_cbranch_execz .LBB4_41
; %bb.32:
	s_trap 2
	ds_load_b64 v[4:5], v0
	s_mov_b32 s1, exec_lo
                                        ; implicit-def: $vgpr14_vgpr15
	s_wait_dscnt 0x0
	v_readfirstlane_b32 s2, v4
	v_readfirstlane_b32 s3, v5
	flat_load_b64 v[24:25], v67, s[2:3] scale_offset
	s_wait_loadcnt_dscnt 0x0
	flat_load_b32 v4, v[24:25] offset:640
	s_wait_loadcnt_dscnt 0x0
	v_cmpx_eq_u32_e32 1, v4
	s_cbranch_execz .LBB4_34
; %bb.33:
	flat_load_b64 v[14:15], v[24:25] offset:648
	v_or_b32_e32 v80, 0x2000, v80
	s_wait_loadcnt_dscnt 0x0
	flat_load_b64 v[4:5], v[14:15]
	s_trap 2
	s_wait_loadcnt_dscnt 0x0
	ds_store_b64 v0, v[4:5]
	flat_load_b64 v[4:5], v[14:15] offset:8
	s_wait_loadcnt_dscnt 0x0
	ds_store_b64 v0, v[4:5]
	flat_load_b64 v[4:5], v[14:15] offset:16
	s_wait_loadcnt_dscnt 0x0
	ds_store_b64 v0, v[4:5]
.LBB4_34:
	s_wait_xcnt 0x0
	s_or_b32 exec_lo, exec_lo, s1
	flat_load_b64 v[4:5], v[24:25] offset:608
	s_mov_b32 s1, exec_lo
                                        ; implicit-def: $vgpr18_vgpr19
	s_wait_loadcnt_dscnt 0x0
	v_add_nc_u64_e32 v[82:83], 3, v[4:5]
	v_and_b32_e32 v4, 32, v80
	s_delay_alu instid0(VALU_DEP_2) | instskip(SKIP_1) | instid1(VALU_DEP_2)
	v_and_b32_e32 v82, -4, v82
	s_wait_xcnt 0x0
	v_cmpx_ne_u32_e32 0, v4
	s_cbranch_execz .LBB4_36
; %bb.35:
	flat_load_b64 v[18:19], v[24:25] offset:560
	global_wb scope:SCOPE_SYS
	s_wait_storecnt 0x0
	s_wait_xcnt 0x0
	s_wait_loadcnt_dscnt 0x0
	flat_store_b64 v[18:19], v[82:83] scope:SCOPE_SYS
.LBB4_36:
	s_wait_xcnt 0x0
	s_or_b32 exec_lo, exec_lo, s1
	v_and_b32_e32 v20, 4, v80
	v_add_nc_u64_e32 v[16:17], 0x1f8, v[24:25]
	v_mov_b64_e32 v[4:5], 0
                                        ; implicit-def: $vgpr26_vgpr27
                                        ; implicit-def: $vgpr22_vgpr23
	s_delay_alu instid0(VALU_DEP_3)
	v_cmp_ne_u32_e32 vcc_lo, 0, v20
                                        ; implicit-def: $vgpr20
	s_and_saveexec_b32 s1, vcc_lo
	s_cbranch_execz .LBB4_40
; %bb.37:
	v_and_b32_e32 v4, 0x800, v80
	s_mov_b32 s2, exec_lo
	s_delay_alu instid0(VALU_DEP_1)
	v_cmpx_eq_u32_e32 0, v4
	s_cbranch_execz .LBB4_39
; %bb.38:
	s_trap 2
	ds_store_b64 v0, v[16:17]
.LBB4_39:
	s_or_b32 exec_lo, exec_lo, s2
	flat_load_b64 v[18:19], v[24:25] offset:552
	s_wait_loadcnt_dscnt 0x0
	flat_load_b64 v[26:27], v[18:19] scope:SCOPE_SYS
	s_clause 0x2
	flat_load_b64 v[4:5], v[24:25] offset:600
	flat_load_b32 v20, v[24:25] offset:576
	flat_load_b64 v[22:23], v[24:25] offset:520
	s_wait_xcnt 0x0
	v_or_b32_e32 v24, 0x100, v80
	s_wait_loadcnt_dscnt 0x202
	v_cmp_eq_u64_e32 vcc_lo, 0, v[4:5]
	s_delay_alu instid0(VALU_DEP_2)
	v_cndmask_b32_e32 v80, v24, v80, vcc_lo
.LBB4_40:
	s_or_b32 exec_lo, exec_lo, s1
.LBB4_41:
	s_delay_alu instid0(SALU_CYCLE_1) | instskip(NEXT) | instid1(VALU_DEP_1)
	s_or_b32 exec_lo, exec_lo, s0
	v_mul_u64_e32 v[52:53], v[28:29], v[6:7]
	v_mul_u64_e32 v[48:49], v[38:39], v[6:7]
	v_dual_ashrrev_i32 v39, 31, v66 :: v_dual_bitop2_b32 v6, 24, v80 bitop3:0x40
	s_mov_b32 s0, exec_lo
                                        ; implicit-def: $vgpr24_vgpr25
	s_delay_alu instid0(VALU_DEP_1)
	v_cmpx_ne_u32_e32 0, v6
	s_cbranch_execz .LBB4_49
; %bb.42:
	s_trap 2
	ds_load_b64 v[4:5], v0
	v_or_b32_e32 v24, 0x100, v80
	s_wait_dscnt 0x0
	v_readfirstlane_b32 s2, v4
	v_readfirstlane_b32 s3, v5
	flat_load_b64 v[16:17], v67, s[2:3] scale_offset
	s_wait_loadcnt_dscnt 0x0
	flat_load_b128 v[4:7], v[16:17] offset:96
	s_wait_loadcnt_dscnt 0x0
	v_cmp_eq_u64_e32 vcc_lo, 0, v[4:5]
	v_cndmask_b32_e32 v80, v24, v80, vcc_lo
	s_delay_alu instid0(VALU_DEP_1) | instskip(NEXT) | instid1(VALU_DEP_1)
	v_and_b32_e32 v24, 16, v80
	v_cmp_ne_u32_e32 vcc_lo, 0, v24
                                        ; implicit-def: $vgpr24_vgpr25
	s_wait_xcnt 0x0
	s_and_saveexec_b32 s1, vcc_lo
	s_cbranch_execz .LBB4_44
; %bb.43:
	s_clause 0x2
	flat_load_b64 v[18:19], v[16:17] offset:48
	flat_load_b64 v[24:25], v[16:17] offset:120
	;; [unrolled: 1-line block ×3, first 2 shown]
.LBB4_44:
	s_wait_xcnt 0x0
	s_or_b32 exec_lo, exec_lo, s1
	v_add_nc_u64_e32 v[82:83], 3, v[6:7]
	v_and_b32_e32 v6, 8, v80
	s_mov_b32 s1, exec_lo
	s_delay_alu instid0(VALU_DEP_2) | instskip(NEXT) | instid1(VALU_DEP_2)
	v_and_b32_e32 v82, -4, v82
	v_cmpx_ne_u32_e32 0, v6
	s_cbranch_execz .LBB4_48
; %bb.45:
	v_and_b32_e32 v6, 0x800, v80
	s_mov_b32 s2, exec_lo
	s_delay_alu instid0(VALU_DEP_1)
	v_cmpx_eq_u32_e32 0, v6
	s_cbranch_execz .LBB4_47
; %bb.46:
	s_trap 2
	ds_store_b64 v0, v[16:17]
.LBB4_47:
	s_or_b32 exec_lo, exec_lo, s2
	s_wait_loadcnt_dscnt 0x202
	flat_load_b64 v[18:19], v[16:17] offset:56
	s_wait_loadcnt_dscnt 0x0
	flat_load_b64 v[26:27], v[18:19] scope:SCOPE_SYS
	s_clause 0x1
	flat_load_b32 v20, v[16:17] offset:72
	flat_load_b64 v[22:23], v[16:17] offset:16
.LBB4_48:
	s_wait_xcnt 0x0
	s_or_b32 exec_lo, exec_lo, s1
.LBB4_49:
	s_delay_alu instid0(SALU_CYCLE_1)
	s_or_b32 exec_lo, exec_lo, s0
	v_cmp_eq_u32_e64 s0, 0, v0
	s_and_saveexec_b32 s1, s0
	s_cbranch_execz .LBB4_51
; %bb.50:
	s_wait_loadcnt 0x1
	v_dual_mov_b32 v6, v10 :: v_dual_mov_b32 v7, v11
	v_mov_b64_e32 v[10:11], 0
	ds_store_2addr_b64 v0, v[6:7], v[8:9] offset1:1
	s_trap 2
	ds_store_b64 v0, v[10:11]
.LBB4_51:
	s_or_b32 exec_lo, exec_lo, s1
	s_wait_loadcnt 0x1
	v_mov_b64_e32 v[10:11], 0
	s_wait_loadcnt 0x0
	v_and_b32_e32 v46, 0xffff, v55
	v_cmp_ne_u32_e64 s1, 32, v1
	s_cmp_lt_i32 s16, -1
	s_mov_b32 s18, -1
	s_cbranch_scc1 .LBB4_615
; %bb.52:
	v_mul_u64_e32 v[8:9], v[50:51], v[36:37]
	v_mul_lo_u32 v6, v53, v21
	s_mov_b32 s13, 0
	s_abs_i32 s19, s16
	s_lshr_b32 s6, s16, 31
	s_cvt_f32_u32 s11, s19
	s_ashr_i32 s7, s5, 31
	s_add_co_i32 s6, s16, s6
	s_lshr_b32 s7, s7, 25
	v_rcp_iflag_f32_e32 v69, s11
	s_ashr_i32 s20, s6, 1
	s_delay_alu instid0(VALU_DEP_1) | instskip(SKIP_2) | instid1(TRANS32_DEP_1)
	v_dual_mov_b32 v11, s13 :: v_dual_sub_nc_u32 v6, v28, v6
	s_add_co_i32 s6, s5, s7
	v_dual_lshrrev_b32 v36, 5, v1 :: v_dual_bitop2_b32 v68, 31, v31 bitop3:0x40
	v_readfirstlane_b32 s5, v69
	s_delay_alu instid0(VALU_DEP_3)
	v_cmp_ge_u32_e32 vcc_lo, v6, v21
	s_sub_co_i32 s12, 0, s19
	v_cmp_eq_u32_e64 s10, 32, v1
	s_wait_dscnt 0x1
	v_cmp_eq_u64_e64 s3, 0, v[24:25]
	s_mul_f32 s7, s5, 0x4f7ffffe
	v_cmp_eq_u32_e64 s5, 0, v68
	v_cmp_ne_u64_e64 s4, 0, v[24:25]
	v_and_b32_e32 v32, 0x3ffffe00, v32
	s_cvt_u32_f32 s14, s7
	v_cmp_ne_u32_e64 s2, v1, v46
	s_ashr_i32 s21, s6, 7
	v_mov_b32_e32 v57, 0x88
	s_mul_i32 s12, s12, s14
	s_mov_b32 s15, s13
	s_mul_hi_u32 s12, s14, s12
	v_sub_nc_u64_e32 v[8:9], v[34:35], v[8:9]
	v_sub_nc_u32_e32 v7, v6, v21
	s_add_co_i32 s14, s14, s12
	s_xor_b32 s22, s10, -1
	s_mov_b32 s23, 0
	s_delay_alu instid0(VALU_DEP_1) | instskip(SKIP_2) | instid1(VALU_DEP_2)
	v_dual_cndmask_b32 v6, v6, v7 :: v_dual_add_nc_u32 v9, 1, v49
	s_trap 2
	v_dual_mov_b32 v35, 0 :: v_dual_mov_b32 v47, 1
	v_dual_ashrrev_i32 v34, 31, v0 :: v_dual_sub_nc_u32 v7, v6, v21
	v_cmp_ge_u32_e32 vcc_lo, v6, v21
	s_delay_alu instid0(VALU_DEP_2) | instskip(SKIP_1) | instid1(VALU_DEP_1)
	v_dual_mov_b32 v37, v35 :: v_dual_cndmask_b32 v6, v6, v7
	v_mul_lo_u32 v7, v49, v21
	v_sub_nc_u32_e32 v7, v38, v7
	s_delay_alu instid0(VALU_DEP_3) | instskip(SKIP_1) | instid1(VALU_DEP_2)
	v_xor_b32_e32 v6, v6, v33
	v_and_b32_e32 v38, 0x1fe0, v1
	v_sub_nc_u32_e32 v6, v6, v33
	s_delay_alu instid0(VALU_DEP_1) | instskip(NEXT) | instid1(VALU_DEP_1)
	v_mad_u32 v6, v54, v21, v6
	v_cmp_lt_i32_e32 vcc_lo, v6, v8
	v_cndmask_b32_e64 v10, 0, 1, vcc_lo
	v_cmp_ge_u32_e32 vcc_lo, v7, v21
	s_delay_alu instid0(VALU_DEP_2) | instskip(SKIP_3) | instid1(VALU_DEP_4)
	v_add_nc_u64_e32 v[10:11], v[50:51], v[10:11]
	v_cndmask_b32_e32 v9, v49, v9, vcc_lo
	v_sub_nc_u32_e32 v33, v7, v21
	v_mov_b64_e32 v[48:49], 0
	v_mul_u64_e32 v[28:29], v[10:11], v[64:65]
	s_delay_alu instid0(VALU_DEP_3) | instskip(SKIP_1) | instid1(VALU_DEP_2)
	v_cndmask_b32_e32 v7, v7, v33, vcc_lo
	v_dual_mov_b32 v33, v35 :: v_dual_add_nc_u32 v10, 1, v9
	v_cmp_ge_u32_e32 vcc_lo, v7, v21
	s_delay_alu instid0(VALU_DEP_2) | instskip(SKIP_2) | instid1(VALU_DEP_3)
	v_dual_ashrrev_i32 v21, 31, v20 :: v_dual_cndmask_b32 v7, v9, v10, vcc_lo
	v_ashrrev_i32_e32 v9, 31, v8
	v_cmp_ge_i32_e32 vcc_lo, v0, v1
	v_dual_ashrrev_i32 v7, 31, v6 :: v_dual_bitop2_b32 v10, v7, v39 bitop3:0x14
	s_delay_alu instid0(VALU_DEP_1) | instskip(NEXT) | instid1(VALU_DEP_2)
	v_sub_nc_u32_e32 v70, v10, v39
	v_min_i64 v[52:53], v[6:7], v[8:9]
	v_min_i32_e32 v8, v6, v8
	v_mul_lo_u32 v39, v51, v6
	v_mul_lo_u32 v54, v50, v7
	v_ashrrev_i32_e32 v71, 31, v70
	v_cmp_eq_u32_e64 s11, 0, v70
	v_ashrrev_i32_e32 v9, 31, v8
	v_mov_b64_e32 v[10:11], 0
	v_mov_b32_e32 v51, v35
	s_wait_dscnt 0x0
	v_mul_u64_e32 v[66:67], v[28:29], v[70:71]
	v_mad_nc_u64_u32 v[8:9], v50, v6, v[8:9]
	s_delay_alu instid0(VALU_DEP_1) | instskip(SKIP_2) | instid1(VALU_DEP_1)
	v_add3_u32 v9, v39, v9, v54
	v_mad_nc_u64_u32 v[6:7], v50, v6, v[52:53]
	v_dual_lshrrev_b32 v53, 27, v34 :: v_dual_lshlrev_b32 v50, 11, v36
	v_dual_lshlrev_b32 v52, 9, v36 :: v_dual_add_nc_u32 v71, v0, v53
	v_dual_mov_b32 v53, v35 :: v_dual_lshrrev_b32 v34, 31, v67
	s_delay_alu instid0(VALU_DEP_4) | instskip(SKIP_1) | instid1(VALU_DEP_3)
	v_add3_u32 v7, v39, v7, v54
	v_mul_u64_e32 v[54:55], v[8:9], v[64:65]
	v_add_nc_u64_e32 v[8:9], v[66:67], v[34:35]
	s_delay_alu instid0(VALU_DEP_3) | instskip(SKIP_3) | instid1(VALU_DEP_3)
	v_mul_u64_e32 v[64:65], v[6:7], v[64:65]
	v_lshrrev_b32_e32 v34, 31, v29
	v_and_b32_e32 v66, 0xffffffe0, v71
	v_mov_b32_e32 v39, v35
	v_add_nc_u64_e32 v[6:7], v[28:29], v[34:35]
	s_delay_alu instid0(VALU_DEP_3) | instskip(SKIP_1) | instid1(VALU_DEP_2)
	v_dual_sub_nc_u32 v56, v0, v66 :: v_dual_ashrrev_i32 v66, 5, v71
	v_ashrrev_i64 v[70:71], 1, v[8:9]
	v_lshlrev_b32_e32 v34, 4, v56
	s_delay_alu instid0(VALU_DEP_4) | instskip(SKIP_2) | instid1(VALU_DEP_4)
	v_ashrrev_i64 v[6:7], 1, v[6:7]
	v_cmp_gt_i32_e64 s6, 1, v56
	v_cmp_lt_i32_e64 s7, v56, v30
	v_lshl_add_u32 v68, v66, 11, v34
	v_ashrrev_i32_e32 v67, 31, v66
	v_sub_nc_u64_e32 v[84:85], v[28:29], v[6:7]
	s_delay_alu instid0(VALU_DEP_1) | instskip(NEXT) | instid1(VALU_DEP_2)
	v_dual_ashrrev_i32 v69, 31, v68 :: v_dual_cndmask_b32 v81, v85, v7, s11
	v_cndmask_b32_e64 v30, v84, v6, s11
	s_xor_b32 s11, vcc_lo, -1
.LBB4_53:                               ; =>This Loop Header: Depth=1
                                        ;     Child Loop BB4_62 Depth 2
                                        ;     Child Loop BB4_69 Depth 2
                                        ;     Child Loop BB4_77 Depth 2
                                        ;     Child Loop BB4_82 Depth 2
                                        ;     Child Loop BB4_89 Depth 2
                                        ;       Child Loop BB4_93 Depth 3
                                        ;         Child Loop BB4_101 Depth 4
                                        ;         Child Loop BB4_125 Depth 4
	;; [unrolled: 1-line block ×8, first 2 shown]
                                        ;       Child Loop BB4_214 Depth 3
                                        ;         Child Loop BB4_220 Depth 4
                                        ;         Child Loop BB4_244 Depth 4
                                        ;       Child Loop BB4_265 Depth 3
                                        ;         Child Loop BB4_268 Depth 4
                                        ;           Child Loop BB4_276 Depth 5
                                        ;           Child Loop BB4_304 Depth 5
	;; [unrolled: 1-line block ×8, first 2 shown]
                                        ;         Child Loop BB4_393 Depth 4
                                        ;           Child Loop BB4_399 Depth 5
                                        ;           Child Loop BB4_427 Depth 5
                                        ;       Child Loop BB4_447 Depth 3
                                        ;         Child Loop BB4_455 Depth 4
                                        ;         Child Loop BB4_479 Depth 4
	;; [unrolled: 1-line block ×8, first 2 shown]
                                        ;       Child Loop BB4_566 Depth 3
                                        ;         Child Loop BB4_572 Depth 4
                                        ;         Child Loop BB4_596 Depth 4
	s_sub_co_i32 s10, s16, s23
	s_trap 2
	s_abs_i32 s12, s10
	ds_load_b64 v[6:7], v0
	s_mul_u64 s[24:25], s[12:13], s[14:15]
	s_ashr_i32 s10, s10, 31
	s_mul_i32 s24, s25, s19
	s_delay_alu instid0(SALU_CYCLE_1) | instskip(NEXT) | instid1(SALU_CYCLE_1)
	s_sub_co_i32 s12, s12, s24
	s_sub_co_i32 s24, s12, s19
	s_cmp_ge_u32 s12, s19
	s_cselect_b32 s12, s24, s12
	s_delay_alu instid0(SALU_CYCLE_1) | instskip(SKIP_2) | instid1(SALU_CYCLE_1)
	s_sub_co_i32 s24, s12, s19
	s_cmp_ge_u32 s12, s19
	s_cselect_b32 s12, s24, s12
	s_xor_b32 s12, s12, s10
	s_delay_alu instid0(SALU_CYCLE_1)
	s_sub_co_i32 s10, s12, s10
	v_mov_b32_e32 v9, s23
	s_wait_dscnt 0x0
	v_readfirstlane_b32 s24, v6
	v_readfirstlane_b32 s25, v7
	v_mov_b32_e32 v7, s10
	s_cmp_lg_u32 s23, 0
	s_clause 0x1
	flat_load_b32 v6, v9, s[24:25] scale_offset
	flat_load_b32 v8, v7, s[24:25] scale_offset
	s_wait_xcnt 0x0
	s_cselect_b32 s24, -1, 0
	s_wait_loadcnt_dscnt 0x0
	v_dual_ashrrev_i32 v7, 31, v6 :: v_dual_ashrrev_i32 v9, 31, v8
	v_cmp_eq_u32_e32 vcc_lo, v8, v6
	s_delay_alu instid0(VALU_DEP_2) | instskip(NEXT) | instid1(VALU_DEP_3)
	v_mul_u64_e32 v[98:99], v[12:13], v[6:7]
	v_mul_u64_e32 v[100:101], v[12:13], v[8:9]
	v_dual_cndmask_b32 v103, 0, v71 :: v_dual_cndmask_b32 v102, 0, v70
	v_dual_cndmask_b32 v85, v29, v81 :: v_dual_cndmask_b32 v84, v28, v30
	s_and_b32 vcc_lo, exec_lo, s24
	s_delay_alu instid0(VALU_DEP_4) | instskip(NEXT) | instid1(VALU_DEP_4)
	v_add_nc_u64_e32 v[6:7], v[98:99], v[54:55]
	v_add_nc_u64_e32 v[8:9], v[100:101], v[54:55]
	s_delay_alu instid0(VALU_DEP_2) | instskip(NEXT) | instid1(VALU_DEP_2)
	v_add_nc_u64_e32 v[86:87], v[6:7], v[102:103]
	v_add_nc_u64_e32 v[96:97], v[8:9], v[102:103]
	s_cbranch_vccz .LBB4_55
; %bb.54:                               ;   in Loop: Header=BB4_53 Depth=1
	s_and_saveexec_b32 s12, s24
	s_cbranch_execnz .LBB4_85
	s_branch .LBB4_613
.LBB4_55:                               ;   in Loop: Header=BB4_53 Depth=1
	flat_load_b128 v[6:9], v[2:3] offset:16
	s_mov_b32 s24, -1
	s_mov_b32 s10, exec_lo
	s_wait_loadcnt_dscnt 0x0
	v_cmpx_ne_u64_e64 v[8:9], v[6:7]
	s_cbranch_execz .LBB4_84
; %bb.56:                               ;   in Loop: Header=BB4_53 Depth=1
	s_mov_b32 s24, 0
	s_and_saveexec_b32 s12, s6
; %bb.57:                               ;   in Loop: Header=BB4_53 Depth=1
	v_dual_add_nc_u32 v34, v8, v86 :: v_dual_add_nc_u32 v112, v6, v96
	s_delay_alu instid0(VALU_DEP_1) | instskip(NEXT) | instid1(VALU_DEP_1)
	v_bitop3_b32 v34, v34, 15, v112 bitop3:0xc8
	v_cmp_ne_u32_e32 vcc_lo, 0, v34
	s_and_b32 s24, vcc_lo, exec_lo
; %bb.58:                               ;   in Loop: Header=BB4_53 Depth=1
	s_or_b32 exec_lo, exec_lo, s12
	v_cndmask_b32_e64 v34, 0, 1, s24
	s_delay_alu instid0(VALU_DEP_1)
	v_cmp_ne_u32_e32 vcc_lo, 0, v34
	s_cbranch_vccz .LBB4_60
; %bb.59:                               ;   in Loop: Header=BB4_53 Depth=1
	v_mov_b64_e32 v[112:113], 0
	v_mov_b64_e32 v[114:115], v[84:85]
	v_dual_mov_b32 v58, v0 :: v_dual_mov_b32 v40, v66
	v_mov_b64_e32 v[42:43], v[66:67]
	s_mov_b32 s24, -1
	s_delay_alu instid0(SALU_CYCLE_1)
	s_and_saveexec_b32 s12, s24
	s_cbranch_execnz .LBB4_75
	s_branch .LBB4_83
.LBB4_60:                               ;   in Loop: Header=BB4_53 Depth=1
	v_ashrrev_i32_e32 v34, 31, v85
	s_mov_b32 s12, exec_lo
	s_delay_alu instid0(VALU_DEP_1) | instskip(NEXT) | instid1(VALU_DEP_1)
	v_lshrrev_b32_e32 v34, 21, v34
	v_add_nc_u64_e32 v[112:113], v[84:85], v[34:35]
	s_delay_alu instid0(VALU_DEP_1) | instskip(NEXT) | instid1(VALU_DEP_1)
	v_ashrrev_i64 v[112:113], 11, v[112:113]
	v_sub_nc_u64_e32 v[116:117], v[112:113], v[66:67]
	s_delay_alu instid0(VALU_DEP_1)
	v_cmpx_lt_i64_e32 0, v[116:117]
	s_cbranch_execz .LBB4_64
; %bb.61:                               ;   in Loop: Header=BB4_53 Depth=1
	v_add_nc_u64_e32 v[114:115], v[64:65], v[102:103]
	s_mov_b32 s24, 0
	s_delay_alu instid0(VALU_DEP_1) | instskip(SKIP_1) | instid1(VALU_DEP_2)
	v_add_nc_u64_e32 v[118:119], v[114:115], v[8:9]
	v_add_nc_u64_e32 v[40:41], v[114:115], v[6:7]
	;; [unrolled: 1-line block ×3, first 2 shown]
	s_delay_alu instid0(VALU_DEP_2)
	v_add_nc_u64_e32 v[118:119], v[40:41], v[100:101]
.LBB4_62:                               ;   Parent Loop BB4_53 Depth=1
                                        ; =>  This Inner Loop Header: Depth=2
	s_delay_alu instid0(VALU_DEP_2)
	v_add_nc_u64_e32 v[44:45], v[68:69], v[114:115]
	v_sub_nc_u64_e32 v[116:117], v[116:117], v[36:37]
	v_add_nc_u64_e32 v[114:115], v[114:115], v[50:51]
	s_clause 0x3
	global_load_b128 v[40:43], v[44:45], off th:TH_LOAD_NT
	global_load_b128 v[58:61], v[44:45], off offset:512 th:TH_LOAD_NT
	global_load_b128 v[72:75], v[44:45], off offset:1024 th:TH_LOAD_NT
	;; [unrolled: 1-line block ×3, first 2 shown]
	v_cmp_gt_i64_e32 vcc_lo, 1, v[116:117]
	s_wait_xcnt 0x0
	v_add_nc_u64_e32 v[44:45], v[68:69], v[118:119]
	v_add_nc_u64_e32 v[118:119], v[118:119], v[50:51]
	s_wait_loadcnt 0x3
	global_store_b128 v[44:45], v[40:43], off th:TH_STORE_NT
	s_wait_loadcnt 0x2
	global_store_b128 v[44:45], v[58:61], off offset:512 th:TH_STORE_NT
	s_wait_loadcnt 0x1
	global_store_b128 v[44:45], v[72:75], off offset:1024 th:TH_STORE_NT
	;; [unrolled: 2-line block ×3, first 2 shown]
	s_or_b32 s24, vcc_lo, s24
	s_wait_xcnt 0x0
	s_and_not1_b32 exec_lo, exec_lo, s24
	s_cbranch_execnz .LBB4_62
; %bb.63:                               ;   in Loop: Header=BB4_53 Depth=1
	s_or_b32 exec_lo, exec_lo, s24
.LBB4_64:                               ;   in Loop: Header=BB4_53 Depth=1
	s_delay_alu instid0(SALU_CYCLE_1) | instskip(SKIP_4) | instid1(VALU_DEP_2)
	s_or_b32 exec_lo, exec_lo, s12
	v_lshlrev_b64_e32 v[118:119], 11, v[112:113]
	v_mov_b64_e32 v[112:113], 0
	s_mov_b32 s24, 0
	s_mov_b32 s12, exec_lo
                                        ; implicit-def: $vgpr114_vgpr115
                                        ; implicit-def: $vgpr58
                                        ; implicit-def: $vgpr40
                                        ; implicit-def: $vgpr42_vgpr43
	v_cmpx_ne_u64_e64 v[84:85], v[118:119]
	s_cbranch_execz .LBB4_74
; %bb.65:                               ;   in Loop: Header=BB4_53 Depth=1
	v_sub_nc_u64_e32 v[40:41], v[84:85], v[118:119]
	s_mov_b32 s24, exec_lo
	s_delay_alu instid0(VALU_DEP_1) | instskip(NEXT) | instid1(VALU_DEP_1)
	v_ashrrev_i32_e32 v34, 31, v41
	v_lshrrev_b32_e32 v34, 23, v34
	s_delay_alu instid0(VALU_DEP_1) | instskip(NEXT) | instid1(VALU_DEP_1)
	v_add_nc_u64_e32 v[112:113], v[40:41], v[34:35]
	v_ashrrev_i64 v[42:43], 9, v[112:113]
	v_and_b32_e32 v112, 0xfffffe00, v112
	s_delay_alu instid0(VALU_DEP_1) | instskip(SKIP_1) | instid1(VALU_DEP_2)
	v_sub_nc_u64_e32 v[114:115], v[40:41], v[112:113]
	v_add_nc_u64_e32 v[112:113], v[112:113], v[118:119]
	v_cmpx_lt_i64_e32 15, v[114:115]
; %bb.66:                               ;   in Loop: Header=BB4_53 Depth=1
	v_and_b32_e32 v34, 15, v84
	v_add_nc_u64_e32 v[42:43], 1, v[42:43]
	s_delay_alu instid0(VALU_DEP_2) | instskip(NEXT) | instid1(VALU_DEP_1)
	v_sub_nc_u64_e32 v[114:115], v[114:115], v[34:35]
	v_add_nc_u64_e32 v[112:113], v[114:115], v[112:113]
	v_mov_b64_e32 v[114:115], v[34:35]
; %bb.67:                               ;   in Loop: Header=BB4_53 Depth=1
	s_or_b32 exec_lo, exec_lo, s24
	v_lshlrev_b32_e32 v34, 5, v116
	s_mov_b32 s24, exec_lo
	s_delay_alu instid0(VALU_DEP_1) | instskip(NEXT) | instid1(VALU_DEP_1)
	v_sub_nc_u32_e32 v34, v56, v34
	v_ashrrev_i32_e32 v116, 31, v34
	s_delay_alu instid0(VALU_DEP_1) | instskip(NEXT) | instid1(VALU_DEP_1)
	v_lshrrev_b32_e32 v116, 27, v116
	v_add_nc_u32_e32 v116, v34, v116
	s_delay_alu instid0(VALU_DEP_1) | instskip(NEXT) | instid1(VALU_DEP_1)
	v_and_b32_e32 v117, 0xffffffe0, v116
	v_dual_ashrrev_i32 v116, 5, v116 :: v_dual_sub_nc_u32 v34, v34, v117
	s_delay_alu instid0(VALU_DEP_1) | instskip(NEXT) | instid1(VALU_DEP_1)
	v_lshlrev_b32_e32 v117, 4, v34
	v_lshl_add_u32 v44, v116, 9, v117
	v_ashrrev_i32_e32 v117, 31, v116
	s_delay_alu instid0(VALU_DEP_2) | instskip(NEXT) | instid1(VALU_DEP_2)
	v_ashrrev_i32_e32 v45, 31, v44
	v_sub_nc_u64_e32 v[116:117], v[42:43], v[116:117]
	s_delay_alu instid0(VALU_DEP_2) | instskip(NEXT) | instid1(VALU_DEP_1)
	v_sub_nc_u64_e32 v[40:41], v[40:41], v[44:45]
	v_cmpx_lt_i64_e32 15, v[40:41]
	s_cbranch_execz .LBB4_71
; %bb.68:                               ;   in Loop: Header=BB4_53 Depth=1
	v_add_nc_u64_e32 v[42:43], v[54:55], v[102:103]
	s_mov_b32 s25, 0
	s_delay_alu instid0(VALU_DEP_1) | instskip(SKIP_1) | instid1(VALU_DEP_2)
	v_add_nc_u64_e32 v[42:43], v[42:43], v[118:119]
	v_add_nc_u64_e32 v[118:119], v[8:9], v[98:99]
	;; [unrolled: 1-line block ×4, first 2 shown]
.LBB4_69:                               ;   Parent Loop BB4_53 Depth=1
                                        ; =>  This Inner Loop Header: Depth=2
	s_delay_alu instid0(VALU_DEP_2) | instskip(SKIP_1) | instid1(VALU_DEP_3)
	v_add_nc_u64_e32 v[58:59], v[118:119], v[42:43]
	v_sub_nc_u64_e32 v[40:41], v[40:41], v[52:53]
	v_add_nc_u64_e32 v[62:63], v[44:45], v[42:43]
	v_sub_nc_u64_e32 v[116:117], v[116:117], v[36:37]
	v_add_nc_u64_e32 v[42:43], v[42:43], v[52:53]
	global_load_b128 v[58:61], v[58:59], off th:TH_LOAD_NT
	v_cmp_gt_i64_e32 vcc_lo, 16, v[40:41]
	s_or_b32 s25, vcc_lo, s25
	s_wait_loadcnt 0x0
	global_store_b128 v[62:63], v[58:61], off th:TH_STORE_NT
	s_wait_xcnt 0x0
	s_and_not1_b32 exec_lo, exec_lo, s25
	s_cbranch_execnz .LBB4_69
; %bb.70:                               ;   in Loop: Header=BB4_53 Depth=1
	s_or_b32 exec_lo, exec_lo, s25
.LBB4_71:                               ;   in Loop: Header=BB4_53 Depth=1
	s_delay_alu instid0(SALU_CYCLE_1)
	s_or_b32 exec_lo, exec_lo, s24
	s_mov_b32 s24, 0
	s_mov_b32 s25, exec_lo
                                        ; implicit-def: $vgpr58
                                        ; implicit-def: $vgpr40
                                        ; implicit-def: $vgpr42_vgpr43
	v_cmpx_ne_u64_e32 0, v[114:115]
	s_cbranch_execz .LBB4_73
; %bb.72:                               ;   in Loop: Header=BB4_53 Depth=1
	v_cmp_lt_i64_e32 vcc_lo, 0, v[116:117]
	s_mov_b32 s24, exec_lo
	v_cndmask_b32_e32 v117, 0, v36, vcc_lo
	s_delay_alu instid0(VALU_DEP_1) | instskip(NEXT) | instid1(VALU_DEP_1)
	v_sub_nc_u32_e32 v116, v117, v116
	v_lshl_add_u32 v58, v116, 5, v34
	s_delay_alu instid0(VALU_DEP_1) | instskip(NEXT) | instid1(VALU_DEP_1)
	v_ashrrev_i32_e32 v34, 31, v58
	v_lshrrev_b32_e32 v34, 27, v34
	s_delay_alu instid0(VALU_DEP_1) | instskip(NEXT) | instid1(VALU_DEP_1)
	v_add_nc_u32_e32 v34, v58, v34
	v_ashrrev_i32_e32 v40, 5, v34
	s_delay_alu instid0(VALU_DEP_1) | instskip(NEXT) | instid1(VALU_DEP_1)
	v_ashrrev_i32_e32 v41, 31, v40
	v_mov_b64_e32 v[42:43], v[40:41]
.LBB4_73:                               ;   in Loop: Header=BB4_53 Depth=1
	s_or_b32 exec_lo, exec_lo, s25
	s_delay_alu instid0(SALU_CYCLE_1)
	s_and_b32 s24, s24, exec_lo
.LBB4_74:                               ;   in Loop: Header=BB4_53 Depth=1
	s_or_b32 exec_lo, exec_lo, s12
	s_and_saveexec_b32 s12, s24
	s_cbranch_execz .LBB4_83
.LBB4_75:                               ;   in Loop: Header=BB4_53 Depth=1
	v_ashrrev_i32_e32 v34, 31, v115
	s_mov_b32 s24, exec_lo
	s_delay_alu instid0(VALU_DEP_1) | instskip(NEXT) | instid1(VALU_DEP_1)
	v_lshrrev_b32_e32 v34, 23, v34
	v_add_nc_u64_e32 v[116:117], v[114:115], v[34:35]
	v_ashrrev_i32_e32 v34, 31, v58
	s_delay_alu instid0(VALU_DEP_1) | instskip(NEXT) | instid1(VALU_DEP_3)
	v_lshrrev_b32_e32 v34, 27, v34
	v_ashrrev_i64 v[118:119], 9, v[116:117]
	s_delay_alu instid0(VALU_DEP_1) | instskip(NEXT) | instid1(VALU_DEP_1)
	v_sub_nc_u64_e32 v[116:117], v[118:119], v[42:43]
	v_cmpx_lt_i64_e32 0, v[116:117]
	s_cbranch_execz .LBB4_79
; %bb.76:                               ;   in Loop: Header=BB4_53 Depth=1
	v_add_nc_u64_e32 v[42:43], v[54:55], v[102:103]
	v_add_nc_u32_e32 v41, v58, v34
	s_mov_b32 s25, 0
	s_delay_alu instid0(VALU_DEP_1) | instskip(NEXT) | instid1(VALU_DEP_3)
	v_and_b32_e32 v41, 0xffffffe0, v41
	v_add_nc_u64_e32 v[42:43], v[42:43], v[112:113]
	s_delay_alu instid0(VALU_DEP_2) | instskip(NEXT) | instid1(VALU_DEP_2)
	v_sub_nc_u32_e32 v41, v58, v41
	v_add_nc_u64_e32 v[44:45], v[42:43], v[8:9]
	v_add_nc_u64_e32 v[60:61], v[42:43], v[6:7]
	s_delay_alu instid0(VALU_DEP_3) | instskip(NEXT) | instid1(VALU_DEP_1)
	v_lshl_add_u32 v40, v40, 9, v41
	v_ashrrev_i32_e32 v41, 31, v40
	s_delay_alu instid0(VALU_DEP_4) | instskip(NEXT) | instid1(VALU_DEP_4)
	v_add_nc_u64_e32 v[42:43], v[44:45], v[98:99]
	v_add_nc_u64_e32 v[44:45], v[60:61], v[100:101]
.LBB4_77:                               ;   Parent Loop BB4_53 Depth=1
                                        ; =>  This Inner Loop Header: Depth=2
	s_delay_alu instid0(VALU_DEP_2)
	v_add_nc_u64_e32 v[60:61], v[40:41], v[42:43]
	v_sub_nc_u64_e32 v[116:117], v[116:117], v[36:37]
	v_add_nc_u64_e32 v[42:43], v[42:43], v[52:53]
	s_clause 0xf
	flat_load_u8 v59, v[60:61] th:TH_LOAD_NT
	flat_load_u8 v62, v[60:61] offset:32 th:TH_LOAD_NT
	flat_load_u8 v63, v[60:61] offset:64 th:TH_LOAD_NT
	;; [unrolled: 1-line block ×15, first 2 shown]
	v_cmp_gt_i64_e32 vcc_lo, 1, v[116:117]
	s_wait_xcnt 0x0
	v_add_nc_u64_e32 v[60:61], v[40:41], v[44:45]
	v_add_nc_u64_e32 v[44:45], v[44:45], v[52:53]
	s_wait_loadcnt_dscnt 0xf0f
	flat_store_b8 v[60:61], v59 th:TH_STORE_NT
	s_wait_loadcnt_dscnt 0xe0f
	flat_store_b8 v[60:61], v62 offset:32 th:TH_STORE_NT
	s_wait_loadcnt_dscnt 0xd0f
	flat_store_b8 v[60:61], v63 offset:64 th:TH_STORE_NT
	s_wait_loadcnt_dscnt 0xc0f
	flat_store_b8 v[60:61], v72 offset:96 th:TH_STORE_NT
	s_wait_loadcnt_dscnt 0xb0f
	flat_store_b8 v[60:61], v73 offset:128 th:TH_STORE_NT
	s_wait_loadcnt_dscnt 0xa0f
	flat_store_b8 v[60:61], v74 offset:160 th:TH_STORE_NT
	s_wait_loadcnt_dscnt 0x90f
	flat_store_b8 v[60:61], v75 offset:192 th:TH_STORE_NT
	s_wait_loadcnt_dscnt 0x80f
	flat_store_b8 v[60:61], v76 offset:224 th:TH_STORE_NT
	s_wait_loadcnt_dscnt 0x70f
	flat_store_b8 v[60:61], v77 offset:256 th:TH_STORE_NT
	s_wait_loadcnt_dscnt 0x60f
	flat_store_b8 v[60:61], v78 offset:288 th:TH_STORE_NT
	s_wait_loadcnt_dscnt 0x50f
	flat_store_b8 v[60:61], v79 offset:320 th:TH_STORE_NT
	s_wait_loadcnt_dscnt 0x40f
	flat_store_b8 v[60:61], v88 offset:352 th:TH_STORE_NT
	s_wait_loadcnt_dscnt 0x30f
	flat_store_b8 v[60:61], v89 offset:384 th:TH_STORE_NT
	s_wait_loadcnt_dscnt 0x20f
	flat_store_b8 v[60:61], v90 offset:416 th:TH_STORE_NT
	s_wait_loadcnt_dscnt 0x10f
	flat_store_b8 v[60:61], v91 offset:448 th:TH_STORE_NT
	s_wait_loadcnt_dscnt 0xf
	flat_store_b8 v[60:61], v92 offset:480 th:TH_STORE_NT
	s_or_b32 s25, vcc_lo, s25
	s_wait_xcnt 0x0
	s_and_not1_b32 exec_lo, exec_lo, s25
	s_cbranch_execnz .LBB4_77
; %bb.78:                               ;   in Loop: Header=BB4_53 Depth=1
	s_or_b32 exec_lo, exec_lo, s25
.LBB4_79:                               ;   in Loop: Header=BB4_53 Depth=1
	s_delay_alu instid0(SALU_CYCLE_1) | instskip(SKIP_1) | instid1(VALU_DEP_1)
	s_or_b32 exec_lo, exec_lo, s24
	v_lshlrev_b64_e32 v[118:119], 9, v[118:119]
	v_cmp_ne_u64_e32 vcc_lo, v[114:115], v[118:119]
	s_and_b32 exec_lo, exec_lo, vcc_lo
	s_cbranch_execz .LBB4_83
; %bb.80:                               ;   in Loop: Header=BB4_53 Depth=1
	v_dual_add_nc_u32 v34, v58, v34 :: v_dual_lshlrev_b32 v116, 5, v116
	s_delay_alu instid0(VALU_DEP_1) | instskip(NEXT) | instid1(VALU_DEP_1)
	v_and_b32_e32 v34, 0xffffffe0, v34
	v_sub_nc_u32_e32 v34, v58, v34
	s_delay_alu instid0(VALU_DEP_1) | instskip(NEXT) | instid1(VALU_DEP_1)
	v_sub_nc_u32_e32 v116, v34, v116
	v_ashrrev_i32_e32 v117, 31, v116
	s_delay_alu instid0(VALU_DEP_1) | instskip(NEXT) | instid1(VALU_DEP_1)
	v_add_nc_u64_e32 v[40:41], v[118:119], v[116:117]
	v_sub_nc_u64_e32 v[114:115], v[114:115], v[40:41]
	s_delay_alu instid0(VALU_DEP_1)
	v_cmp_lt_i64_e32 vcc_lo, 0, v[114:115]
	s_and_b32 exec_lo, exec_lo, vcc_lo
	s_cbranch_execz .LBB4_83
; %bb.81:                               ;   in Loop: Header=BB4_53 Depth=1
	v_add_nc_u64_e32 v[102:103], v[54:55], v[102:103]
	v_add_nc_u64_e32 v[8:9], v[8:9], v[98:99]
	;; [unrolled: 1-line block ×3, first 2 shown]
	s_mov_b32 s24, 0
	s_delay_alu instid0(VALU_DEP_3) | instskip(NEXT) | instid1(VALU_DEP_1)
	v_add_nc_u64_e32 v[102:103], v[102:103], v[112:113]
	v_add_nc_u64_e32 v[102:103], v[102:103], v[118:119]
	s_delay_alu instid0(VALU_DEP_1)
	v_add_nc_u64_e32 v[98:99], v[102:103], v[116:117]
.LBB4_82:                               ;   Parent Loop BB4_53 Depth=1
                                        ; =>  This Inner Loop Header: Depth=2
	s_delay_alu instid0(VALU_DEP_1)
	v_add_nc_u64_e32 v[100:101], v[8:9], v[98:99]
	v_sub_nc_u64_e32 v[114:115], v[114:115], v[38:39]
	flat_load_u8 v34, v[100:101] th:TH_LOAD_NT
	v_cmp_gt_i64_e32 vcc_lo, 1, v[114:115]
	s_wait_xcnt 0x0
	v_add_nc_u64_e32 v[100:101], v[6:7], v[98:99]
	v_add_nc_u64_e32 v[98:99], v[98:99], v[38:39]
	s_or_b32 s24, vcc_lo, s24
	s_wait_loadcnt_dscnt 0x0
	flat_store_b8 v[100:101], v34 th:TH_STORE_NT
	s_wait_xcnt 0x0
	s_and_not1_b32 exec_lo, exec_lo, s24
	s_cbranch_execnz .LBB4_82
.LBB4_83:                               ;   in Loop: Header=BB4_53 Depth=1
	s_or_b32 exec_lo, exec_lo, s12
	s_delay_alu instid0(SALU_CYCLE_1)
	s_xor_b32 s24, exec_lo, -1
.LBB4_84:                               ;   in Loop: Header=BB4_53 Depth=1
	s_or_b32 exec_lo, exec_lo, s10
	s_and_saveexec_b32 s12, s24
	s_cbranch_execz .LBB4_613
.LBB4_85:                               ;   in Loop: Header=BB4_53 Depth=1
	s_mov_b32 s24, exec_lo
	v_cmpx_lt_i64_e32 0, v[84:85]
	s_cbranch_execz .LBB4_612
; %bb.86:                               ;   in Loop: Header=BB4_53 Depth=1
	v_mov_b64_e32 v[6:7], 0
	s_cmp_gt_u32 s23, 1
	s_mov_b32 s25, 0
	s_cselect_b32 s26, -1, 0
	s_branch .LBB4_89
.LBB4_87:                               ;   in Loop: Header=BB4_89 Depth=2
	s_or_b32 exec_lo, exec_lo, s28
.LBB4_88:                               ;   in Loop: Header=BB4_89 Depth=2
	s_delay_alu instid0(SALU_CYCLE_1) | instskip(SKIP_1) | instid1(VALU_DEP_1)
	s_or_b32 exec_lo, exec_lo, s27
	v_add_nc_u64_e32 v[6:7], v[6:7], v[32:33]
	v_cmp_ge_i64_e32 vcc_lo, v[6:7], v[84:85]
	s_or_b32 s25, vcc_lo, s25
	s_delay_alu instid0(SALU_CYCLE_1)
	s_and_not1_b32 exec_lo, exec_lo, s25
	s_cbranch_execz .LBB4_611
.LBB4_89:                               ;   Parent Loop BB4_53 Depth=1
                                        ; =>  This Loop Header: Depth=2
                                        ;       Child Loop BB4_93 Depth 3
                                        ;         Child Loop BB4_101 Depth 4
                                        ;         Child Loop BB4_125 Depth 4
	;; [unrolled: 1-line block ×8, first 2 shown]
                                        ;       Child Loop BB4_214 Depth 3
                                        ;         Child Loop BB4_220 Depth 4
                                        ;         Child Loop BB4_244 Depth 4
                                        ;       Child Loop BB4_265 Depth 3
                                        ;         Child Loop BB4_268 Depth 4
                                        ;           Child Loop BB4_276 Depth 5
                                        ;           Child Loop BB4_304 Depth 5
	;; [unrolled: 1-line block ×8, first 2 shown]
                                        ;         Child Loop BB4_393 Depth 4
                                        ;           Child Loop BB4_399 Depth 5
                                        ;           Child Loop BB4_427 Depth 5
                                        ;       Child Loop BB4_447 Depth 3
                                        ;         Child Loop BB4_455 Depth 4
                                        ;         Child Loop BB4_479 Depth 4
	;; [unrolled: 1-line block ×8, first 2 shown]
                                        ;       Child Loop BB4_566 Depth 3
                                        ;         Child Loop BB4_572 Depth 4
                                        ;         Child Loop BB4_596 Depth 4
	s_delay_alu instid0(VALU_DEP_1) | instskip(SKIP_1) | instid1(VALU_DEP_2)
	v_sub_nc_u64_e32 v[8:9], v[84:85], v[6:7]
	v_mov_b32_e32 v100, 0
	v_min_i64 v[8:9], v[32:33], v[8:9]
	s_delay_alu instid0(VALU_DEP_1) | instskip(NEXT) | instid1(VALU_DEP_2)
	v_add_nc_u32_e32 v34, 31, v8
	v_cmp_ne_u64_e32 vcc_lo, 0, v[8:9]
	s_delay_alu instid0(VALU_DEP_2) | instskip(SKIP_1) | instid1(VALU_DEP_1)
	v_dual_mov_b32 v9, 0 :: v_dual_lshrrev_b32 v34, 1, v34
	s_and_b32 s27, s11, vcc_lo
	v_and_b32_e32 v34, 0x3ffffff0, v34
	s_delay_alu instid0(VALU_DEP_1)
	v_max_i32_e32 v98, s21, v34
	s_and_saveexec_b32 s28, s27
	s_cbranch_execz .LBB4_210
; %bb.90:                               ;   in Loop: Header=BB4_89 Depth=2
	v_mov_b32_e32 v100, 0
	s_mov_b32 s41, 1
	s_mov_b32 s40, -1
	s_mov_b32 s29, 0
	s_branch .LBB4_93
.LBB4_91:                               ;   in Loop: Header=BB4_93 Depth=3
	s_wait_xcnt 0x0
	s_or_b32 exec_lo, exec_lo, s42
	v_add_nc_u64_e32 v[82:83], 2, v[82:83]
	global_wb scope:SCOPE_SYS
	s_wait_storecnt 0x0
	s_wait_loadcnt_dscnt 0x0
	flat_store_b64 v[18:19], v[82:83] scope:SCOPE_SYS
.LBB4_92:                               ;   in Loop: Header=BB4_93 Depth=3
	s_wait_xcnt 0x0
	s_or_b32 exec_lo, exec_lo, s10
	v_dual_mov_b32 v9, s41 :: v_dual_add_nc_u32 v100, v98, v100
	s_xor_b32 s10, s40, -1
	s_mov_b32 s40, 0
	s_mov_b32 s41, 2
	s_delay_alu instid0(VALU_DEP_1) | instskip(SKIP_1) | instid1(SALU_CYCLE_1)
	v_cmp_ge_i32_e32 vcc_lo, v100, v8
	s_or_b32 s10, s10, vcc_lo
	s_and_b32 s10, exec_lo, s10
	s_delay_alu instid0(SALU_CYCLE_1) | instskip(NEXT) | instid1(SALU_CYCLE_1)
	s_or_b32 s29, s10, s29
	s_and_not1_b32 exec_lo, exec_lo, s29
	s_cbranch_execz .LBB4_209
.LBB4_93:                               ;   Parent Loop BB4_53 Depth=1
                                        ;     Parent Loop BB4_89 Depth=2
                                        ; =>    This Loop Header: Depth=3
                                        ;         Child Loop BB4_101 Depth 4
                                        ;         Child Loop BB4_125 Depth 4
	;; [unrolled: 1-line block ×8, first 2 shown]
	s_and_saveexec_b32 s10, s0
	s_cbranch_execz .LBB4_95
; %bb.94:                               ;   in Loop: Header=BB4_93 Depth=3
	s_trap 2
	ds_load_b64 v[102:103], v0
	v_ashrrev_i32_e32 v101, 31, v100
	s_wait_dscnt 0x0
	v_add_nc_u64_e32 v[102:103], v[102:103], v[86:87]
	s_delay_alu instid0(VALU_DEP_1) | instskip(NEXT) | instid1(VALU_DEP_1)
	v_add_nc_u64_e32 v[102:103], v[102:103], v[6:7]
	v_add_nc_u64_e32 v[102:103], v[102:103], v[100:101]
	ds_store_b64 v0, v[102:103]
	ds_store_b64 v0, v[48:49]
.LBB4_95:                               ;   in Loop: Header=BB4_93 Depth=3
	s_or_b32 exec_lo, exec_lo, s10
	v_sub_nc_u32_e32 v9, v8, v100
	v_and_b32_e32 v34, 8, v80
	s_mov_b32 s42, exec_lo
	s_delay_alu instid0(VALU_DEP_2) | instskip(NEXT) | instid1(VALU_DEP_2)
	v_min_i32_e32 v98, v98, v9
	v_cmpx_ne_u32_e32 0, v34
	s_cbranch_execz .LBB4_117
; %bb.96:                               ;   in Loop: Header=BB4_93 Depth=3
	s_wait_loadcnt 0x0
	v_add_nc_u64_e32 v[112:113], 8, v[26:27]
	v_add_nc_u64_e32 v[102:103], 2, v[82:83]
	s_mov_b32 s43, exec_lo
	s_delay_alu instid0(VALU_DEP_1)
	v_cmpx_lt_u64_e64 v[112:113], v[102:103]
	s_cbranch_execz .LBB4_108
; %bb.97:                               ;   in Loop: Header=BB4_93 Depth=3
	v_and_b32_e32 v9, 64, v80
	s_mov_b32 s44, 0
	s_mov_b32 s56, 0
                                        ; implicit-def: $sgpr45
                                        ; implicit-def: $sgpr46
                                        ; implicit-def: $sgpr47
	s_delay_alu instid0(VALU_DEP_1)
	v_cmp_eq_u32_e32 vcc_lo, 0, v9
	s_branch .LBB4_101
.LBB4_98:                               ;   in Loop: Header=BB4_101 Depth=4
	s_wait_loadcnt_dscnt 0x0
	v_add_nc_u64_e32 v[112:113], 8, v[26:27]
	s_or_b32 s59, s59, exec_lo
	s_delay_alu instid0(VALU_DEP_1)
	v_cmp_ge_u64_e64 s10, v[112:113], v[102:103]
	s_or_not1_b32 s58, s10, exec_lo
.LBB4_99:                               ;   in Loop: Header=BB4_101 Depth=4
	s_or_b32 exec_lo, exec_lo, s61
	s_delay_alu instid0(SALU_CYCLE_1)
	s_and_not1_b32 s10, s47, exec_lo
	s_and_b32 s47, s59, exec_lo
	s_and_not1_b32 s46, s46, exec_lo
	s_and_b32 s58, s58, exec_lo
	s_or_b32 s47, s10, s47
	s_or_b32 s46, s46, s58
.LBB4_100:                              ;   in Loop: Header=BB4_101 Depth=4
	s_or_b32 exec_lo, exec_lo, s57
	s_delay_alu instid0(SALU_CYCLE_1) | instskip(NEXT) | instid1(SALU_CYCLE_1)
	s_and_b32 s10, exec_lo, s46
	s_or_b32 s44, s10, s44
	s_and_not1_b32 s10, s45, exec_lo
	s_and_b32 s45, s47, exec_lo
	s_delay_alu instid0(SALU_CYCLE_1)
	s_or_b32 s45, s10, s45
	s_and_not1_b32 exec_lo, exec_lo, s44
	s_cbranch_execz .LBB4_105
.LBB4_101:                              ;   Parent Loop BB4_53 Depth=1
                                        ;     Parent Loop BB4_89 Depth=2
                                        ;       Parent Loop BB4_93 Depth=3
                                        ; =>      This Inner Loop Header: Depth=4
	s_sleep 1
	s_wait_loadcnt_dscnt 0x0
	flat_load_b64 v[26:27], v[18:19] scope:SCOPE_SYS
	s_or_b32 s47, s47, exec_lo
	s_or_b32 s46, s46, exec_lo
                                        ; implicit-def: $vgpr9
	s_wait_xcnt 0x0
	s_and_saveexec_b32 s57, vcc_lo
	s_cbranch_execz .LBB4_100
; %bb.102:                              ;   in Loop: Header=BB4_101 Depth=4
	s_cmp_lt_i32 s56, 0x270f
	s_mov_b32 s58, -1
	s_cselect_b32 s60, -1, 0
	s_cmp_gt_i32 s56, 0x270e
	s_cbranch_scc0 .LBB4_104
; %bb.103:                              ;   in Loop: Header=BB4_101 Depth=4
	s_trap 2
	ds_load_b64 v[112:113], v0
	s_and_not1_b32 s56, s60, exec_lo
	s_mov_b32 s59, 0
	s_wait_storecnt 0x0
	s_wait_loadcnt_dscnt 0x0
	flat_load_b32 v9, v[112:113] scope:SCOPE_SYS
	s_wait_loadcnt_dscnt 0x0
	global_inv scope:SCOPE_SYS
	v_cmp_eq_u32_e64 s10, 0, v9
	s_and_b32 s10, s10, exec_lo
	s_delay_alu instid0(SALU_CYCLE_1)
	s_or_b32 s60, s56, s10
	s_mov_b32 s56, 0
	s_and_saveexec_b32 s61, s60
	s_cbranch_execz .LBB4_99
	s_branch .LBB4_98
.LBB4_104:                              ;   in Loop: Header=BB4_101 Depth=4
	s_add_co_i32 s56, s56, 1
	s_mov_b32 s59, -1
                                        ; implicit-def: $vgpr9
	s_and_saveexec_b32 s61, s60
	s_cbranch_execz .LBB4_99
	s_branch .LBB4_98
.LBB4_105:                              ;   in Loop: Header=BB4_93 Depth=3
	s_or_b32 exec_lo, exec_lo, s44
	s_xor_b32 s10, s45, -1
	s_delay_alu instid0(SALU_CYCLE_1) | instskip(NEXT) | instid1(SALU_CYCLE_1)
	s_and_saveexec_b32 s44, s10
	s_xor_b32 s10, exec_lo, s44
	s_cbranch_execz .LBB4_107
; %bb.106:                              ;   in Loop: Header=BB4_93 Depth=3
	v_or_b32_e32 v80, 64, v80
	s_wait_storecnt 0x0
	s_wait_loadcnt_dscnt 0x0
	ds_store_b32 v0, v9
	s_trap 2
.LBB4_107:                              ;   in Loop: Header=BB4_93 Depth=3
	s_or_b32 exec_lo, exec_lo, s10
.LBB4_108:                              ;   in Loop: Header=BB4_93 Depth=3
	s_delay_alu instid0(SALU_CYCLE_1)
	s_or_b32 exec_lo, exec_lo, s43
	v_and_b32_e32 v9, 0x100, v80
	v_and_b32_e32 v34, 7, v82
	s_mov_b32 s10, -1
	s_mov_b32 s43, exec_lo
	;;#ASMSTART
	s_wakeup
	;;#ASMEND
                                        ; implicit-def: $vgpr82_vgpr83
	v_cmpx_ne_u32_e32 0, v9
	s_cbranch_execz .LBB4_112
; %bb.109:                              ;   in Loop: Header=BB4_93 Depth=3
	v_mad_nc_u64_u32 v[112:113], v34, 24, v[4:5]
	v_ashrrev_i32_e32 v99, 31, v98
	s_mov_b32 s44, exec_lo
                                        ; implicit-def: $vgpr82_vgpr83
	s_clause 0x1
	flat_load_b32 v9, v[112:113]
	flat_store_b64 v[112:113], v[98:99] offset:8
	s_wait_loadcnt_dscnt 0x1
	v_cmp_ne_u32_e32 vcc_lo, 1, v9
	s_wait_xcnt 0x0
	v_cmpx_eq_u32_e32 1, v9
	s_cbranch_execz .LBB4_111
; %bb.110:                              ;   in Loop: Header=BB4_93 Depth=3
	flat_load_b32 v82, v[112:113] offset:4 scope:SCOPE_SYS
	s_wait_loadcnt_dscnt 0x0
	v_ashrrev_i32_e32 v83, 31, v82
.LBB4_111:                              ;   in Loop: Header=BB4_93 Depth=3
	s_wait_xcnt 0x0
	s_or_b32 exec_lo, exec_lo, s44
	s_delay_alu instid0(SALU_CYCLE_1)
	s_or_not1_b32 s10, vcc_lo, exec_lo
.LBB4_112:                              ;   in Loop: Header=BB4_93 Depth=3
	s_or_b32 exec_lo, exec_lo, s43
	s_and_saveexec_b32 s43, s10
; %bb.113:                              ;   in Loop: Header=BB4_93 Depth=3
	v_mul_u64_e32 v[82:83], v[34:35], v[20:21]
; %bb.114:                              ;   in Loop: Header=BB4_93 Depth=3
	s_or_b32 exec_lo, exec_lo, s43
	s_delay_alu instid0(VALU_DEP_1)
	v_add_nc_u64_e32 v[82:83], v[22:23], v[82:83]
	v_and_b32_e32 v9, 0x2000, v80
	s_mov_b32 s10, exec_lo
	ds_store_b64 v0, v[82:83] offset:784
	v_cmpx_ne_u32_e32 0, v9
	s_cbranch_execz .LBB4_116
; %bb.115:                              ;   in Loop: Header=BB4_93 Depth=3
	ds_load_b64 v[82:83], v0 offset:872
	s_wait_dscnt 0x0
	v_add_nc_u64_e32 v[82:83], 1, v[82:83]
	ds_store_b64 v0, v[82:83] offset:872
.LBB4_116:                              ;   in Loop: Header=BB4_93 Depth=3
	s_or_b32 exec_lo, exec_lo, s10
	v_mov_b64_e32 v[82:83], v[102:103]
.LBB4_117:                              ;   in Loop: Header=BB4_93 Depth=3
	s_or_b32 exec_lo, exec_lo, s42
	s_and_saveexec_b32 s10, s1
	s_cbranch_execz .LBB4_136
; %bb.118:                              ;   in Loop: Header=BB4_93 Depth=3
	s_and_saveexec_b32 s42, s2
	s_delay_alu instid0(SALU_CYCLE_1)
	s_xor_b32 s42, exec_lo, s42
	s_cbranch_execz .LBB4_133
; %bb.119:                              ;   in Loop: Header=BB4_93 Depth=3
	s_and_saveexec_b32 s43, s5
	s_cbranch_execz .LBB4_132
; %bb.120:                              ;   in Loop: Header=BB4_93 Depth=3
	s_mov_b32 s45, exec_lo
	s_mov_b32 s44, exec_lo
	v_mbcnt_lo_u32_b32 v9, s45, 0
	global_wb scope:SCOPE_DEV
	s_wait_storecnt 0x0
	s_wait_loadcnt_dscnt 0x0
	global_inv scope:SCOPE_DEV
	v_cmpx_eq_u32_e32 0, v9
	s_cbranch_execz .LBB4_122
; %bb.121:                              ;   in Loop: Header=BB4_93 Depth=3
	s_bcnt1_i32_b32 s45, s45
	s_delay_alu instid0(SALU_CYCLE_1)
	v_mov_b32_e32 v34, s45
	s_wait_loadcnt 0x0
	ds_add_u64 v0, v[34:35]
	s_trap 2
.LBB4_122:                              ;   in Loop: Header=BB4_93 Depth=3
	s_or_b32 exec_lo, exec_lo, s44
	s_trap 2
	ds_load_b64 v[102:103], v0
	s_wait_dscnt 0x0
	v_add_nc_u64_e32 v[10:11], v[10:11], v[36:37]
	s_mov_b32 s44, exec_lo
	s_delay_alu instid0(VALU_DEP_1)
	v_cmpx_lt_u64_e64 v[102:103], v[10:11]
	s_cbranch_execz .LBB4_131
; %bb.123:                              ;   in Loop: Header=BB4_93 Depth=3
	s_mov_b32 s45, 0
	s_mov_b32 s56, 0
                                        ; implicit-def: $sgpr46
                                        ; implicit-def: $sgpr47
	s_branch .LBB4_125
.LBB4_124:                              ;   in Loop: Header=BB4_125 Depth=4
	s_or_b32 exec_lo, exec_lo, s58
	s_delay_alu instid0(SALU_CYCLE_1) | instskip(NEXT) | instid1(SALU_CYCLE_1)
	s_and_b32 s57, exec_lo, s59
	s_or_b32 s45, s57, s45
	s_and_not1_b32 s46, s46, exec_lo
	s_and_b32 s57, s47, exec_lo
	s_delay_alu instid0(SALU_CYCLE_1)
	s_or_b32 s46, s46, s57
	s_and_not1_b32 exec_lo, exec_lo, s45
	s_cbranch_execz .LBB4_129
.LBB4_125:                              ;   Parent Loop BB4_53 Depth=1
                                        ;     Parent Loop BB4_89 Depth=2
                                        ;       Parent Loop BB4_93 Depth=3
                                        ; =>      This Inner Loop Header: Depth=4
	s_add_co_i32 s56, s56, 1
	s_delay_alu instid0(SALU_CYCLE_1) | instskip(SKIP_1) | instid1(SALU_CYCLE_1)
	s_cmp_lg_u32 s56, 0x2710
	s_cselect_b32 s57, -1, 0
	s_and_b32 vcc_lo, exec_lo, s57
	s_cbranch_vccz .LBB4_127
; %bb.126:                              ;   in Loop: Header=BB4_125 Depth=4
	s_mov_b32 s59, -1
	s_or_b32 s47, s47, exec_lo
	s_and_saveexec_b32 s58, s57
	s_cbranch_execz .LBB4_124
	s_branch .LBB4_128
.LBB4_127:                              ;   in Loop: Header=BB4_125 Depth=4
	s_trap 2
	ds_load_b64 v[102:103], v0
	s_and_not1_b32 s57, s57, exec_lo
	s_mov_b32 s56, 0
	s_wait_loadcnt_dscnt 0x0
	flat_load_b32 v9, v[102:103] scope:SCOPE_SYS
	s_wait_loadcnt_dscnt 0x0
	global_inv scope:SCOPE_SYS
	v_cmp_eq_u32_e32 vcc_lo, 0, v9
	s_and_b32 s58, vcc_lo, exec_lo
	s_delay_alu instid0(SALU_CYCLE_1)
	s_or_b32 s57, s57, s58
	s_mov_b32 s59, -1
	s_or_b32 s47, s47, exec_lo
	s_and_saveexec_b32 s58, s57
	s_cbranch_execz .LBB4_124
.LBB4_128:                              ;   in Loop: Header=BB4_125 Depth=4
	s_sleep 1
	s_trap 2
	ds_load_b64 v[102:103], v0
	s_wait_dscnt 0x0
	s_and_not1_b32 s47, s47, exec_lo
	v_cmp_ge_u64_e32 vcc_lo, v[102:103], v[10:11]
	s_or_not1_b32 s59, vcc_lo, exec_lo
	s_branch .LBB4_124
.LBB4_129:                              ;   in Loop: Header=BB4_93 Depth=3
	s_or_b32 exec_lo, exec_lo, s45
	s_and_saveexec_b32 s45, s46
	s_delay_alu instid0(SALU_CYCLE_1)
	s_xor_b32 s45, exec_lo, s45
	s_cbranch_execz .LBB4_131
; %bb.130:                              ;   in Loop: Header=BB4_93 Depth=3
	ds_store_b32 v0, v47
	s_trap 2
.LBB4_131:                              ;   in Loop: Header=BB4_93 Depth=3
	s_or_b32 exec_lo, exec_lo, s44
	;;#ASMSTART
	s_wakeup
	;;#ASMEND
.LBB4_132:                              ;   in Loop: Header=BB4_93 Depth=3
	s_or_b32 exec_lo, exec_lo, s43
.LBB4_133:                              ;   in Loop: Header=BB4_93 Depth=3
	s_and_not1_saveexec_b32 s42, s42
	s_cbranch_execz .LBB4_135
; %bb.134:                              ;   in Loop: Header=BB4_93 Depth=3
	global_wb scope:SCOPE_DEV
	s_wait_storecnt 0x0
	s_wait_loadcnt_dscnt 0x0
	global_inv scope:SCOPE_DEV
	s_barrier_signal -1
	s_barrier_wait -1
.LBB4_135:                              ;   in Loop: Header=BB4_93 Depth=3
	s_or_b32 exec_lo, exec_lo, s42
.LBB4_136:                              ;   in Loop: Header=BB4_93 Depth=3
	s_delay_alu instid0(SALU_CYCLE_1) | instskip(SKIP_3) | instid1(VALU_DEP_1)
	s_or_b32 exec_lo, exec_lo, s10
	s_trap 2
	ds_load_b32 v9, v0
	v_and_b32_e32 v34, 0x4000, v80
	v_cmp_ne_u32_e32 vcc_lo, 0, v34
	s_and_b32 s42, s22, vcc_lo
	s_delay_alu instid0(SALU_CYCLE_1)
	s_and_saveexec_b32 s10, s42
	s_cbranch_execz .LBB4_155
; %bb.137:                              ;   in Loop: Header=BB4_93 Depth=3
	s_and_saveexec_b32 s42, s2
	s_delay_alu instid0(SALU_CYCLE_1)
	s_xor_b32 s42, exec_lo, s42
	s_cbranch_execz .LBB4_152
; %bb.138:                              ;   in Loop: Header=BB4_93 Depth=3
	s_and_saveexec_b32 s43, s5
	s_cbranch_execz .LBB4_151
; %bb.139:                              ;   in Loop: Header=BB4_93 Depth=3
	s_mov_b32 s45, exec_lo
	s_mov_b32 s44, exec_lo
	v_mbcnt_lo_u32_b32 v34, s45, 0
	global_wb scope:SCOPE_DEV
	s_wait_storecnt 0x0
	s_wait_loadcnt_dscnt 0x0
	global_inv scope:SCOPE_DEV
	v_cmpx_eq_u32_e32 0, v34
	s_cbranch_execz .LBB4_141
; %bb.140:                              ;   in Loop: Header=BB4_93 Depth=3
	s_bcnt1_i32_b32 s45, s45
	s_delay_alu instid0(SALU_CYCLE_1)
	v_mov_b32_e32 v34, s45
	s_wait_loadcnt 0x0
	ds_add_u64 v0, v[34:35]
	s_trap 2
.LBB4_141:                              ;   in Loop: Header=BB4_93 Depth=3
	s_or_b32 exec_lo, exec_lo, s44
	s_trap 2
	ds_load_b64 v[102:103], v0
	s_wait_dscnt 0x0
	v_add_nc_u64_e32 v[10:11], v[10:11], v[36:37]
	s_mov_b32 s44, exec_lo
	s_delay_alu instid0(VALU_DEP_1)
	v_cmpx_lt_u64_e64 v[102:103], v[10:11]
	s_cbranch_execz .LBB4_150
; %bb.142:                              ;   in Loop: Header=BB4_93 Depth=3
	s_mov_b32 s45, 0
	s_mov_b32 s56, 0
                                        ; implicit-def: $sgpr46
                                        ; implicit-def: $sgpr47
	s_branch .LBB4_144
.LBB4_143:                              ;   in Loop: Header=BB4_144 Depth=4
	s_or_b32 exec_lo, exec_lo, s58
	s_delay_alu instid0(SALU_CYCLE_1) | instskip(NEXT) | instid1(SALU_CYCLE_1)
	s_and_b32 s57, exec_lo, s59
	s_or_b32 s45, s57, s45
	s_and_not1_b32 s46, s46, exec_lo
	s_and_b32 s57, s47, exec_lo
	s_delay_alu instid0(SALU_CYCLE_1)
	s_or_b32 s46, s46, s57
	s_and_not1_b32 exec_lo, exec_lo, s45
	s_cbranch_execz .LBB4_148
.LBB4_144:                              ;   Parent Loop BB4_53 Depth=1
                                        ;     Parent Loop BB4_89 Depth=2
                                        ;       Parent Loop BB4_93 Depth=3
                                        ; =>      This Inner Loop Header: Depth=4
	s_add_co_i32 s56, s56, 1
	s_delay_alu instid0(SALU_CYCLE_1) | instskip(SKIP_1) | instid1(SALU_CYCLE_1)
	s_cmp_lg_u32 s56, 0x2710
	s_cselect_b32 s57, -1, 0
	s_and_b32 vcc_lo, exec_lo, s57
	s_cbranch_vccz .LBB4_146
; %bb.145:                              ;   in Loop: Header=BB4_144 Depth=4
	s_mov_b32 s59, -1
	s_or_b32 s47, s47, exec_lo
	s_and_saveexec_b32 s58, s57
	s_cbranch_execz .LBB4_143
	s_branch .LBB4_147
.LBB4_146:                              ;   in Loop: Header=BB4_144 Depth=4
	s_trap 2
	ds_load_b64 v[102:103], v0
	s_and_not1_b32 s57, s57, exec_lo
	s_mov_b32 s56, 0
	s_wait_loadcnt_dscnt 0x0
	flat_load_b32 v34, v[102:103] scope:SCOPE_SYS
	s_wait_loadcnt_dscnt 0x0
	global_inv scope:SCOPE_SYS
	v_cmp_eq_u32_e32 vcc_lo, 0, v34
	s_and_b32 s58, vcc_lo, exec_lo
	s_delay_alu instid0(SALU_CYCLE_1)
	s_or_b32 s57, s57, s58
	s_mov_b32 s59, -1
	s_or_b32 s47, s47, exec_lo
	s_and_saveexec_b32 s58, s57
	s_cbranch_execz .LBB4_143
.LBB4_147:                              ;   in Loop: Header=BB4_144 Depth=4
	s_sleep 1
	s_trap 2
	ds_load_b64 v[102:103], v0
	s_wait_dscnt 0x0
	s_and_not1_b32 s47, s47, exec_lo
	v_cmp_ge_u64_e32 vcc_lo, v[102:103], v[10:11]
	s_or_not1_b32 s59, vcc_lo, exec_lo
	s_branch .LBB4_143
.LBB4_148:                              ;   in Loop: Header=BB4_93 Depth=3
	s_or_b32 exec_lo, exec_lo, s45
	s_and_saveexec_b32 s45, s46
	s_delay_alu instid0(SALU_CYCLE_1)
	s_xor_b32 s45, exec_lo, s45
	s_cbranch_execz .LBB4_150
; %bb.149:                              ;   in Loop: Header=BB4_93 Depth=3
	ds_store_b32 v0, v47
	s_trap 2
.LBB4_150:                              ;   in Loop: Header=BB4_93 Depth=3
	s_or_b32 exec_lo, exec_lo, s44
	;;#ASMSTART
	s_wakeup
	;;#ASMEND
.LBB4_151:                              ;   in Loop: Header=BB4_93 Depth=3
	s_or_b32 exec_lo, exec_lo, s43
.LBB4_152:                              ;   in Loop: Header=BB4_93 Depth=3
	s_and_not1_saveexec_b32 s42, s42
	s_cbranch_execz .LBB4_154
; %bb.153:                              ;   in Loop: Header=BB4_93 Depth=3
	global_wb scope:SCOPE_DEV
	s_wait_storecnt 0x0
	s_wait_loadcnt_dscnt 0x0
	global_inv scope:SCOPE_DEV
	s_barrier_signal -1
	s_barrier_wait -1
.LBB4_154:                              ;   in Loop: Header=BB4_93 Depth=3
	s_or_b32 exec_lo, exec_lo, s42
.LBB4_155:                              ;   in Loop: Header=BB4_93 Depth=3
	s_delay_alu instid0(SALU_CYCLE_1)
	s_or_b32 exec_lo, exec_lo, s10
	s_trap 2
	ds_load_b64 v[102:103], v0
	s_wait_dscnt 0x0
	v_cmp_eq_u64_e32 vcc_lo, 0, v[102:103]
	s_cbranch_vccnz .LBB4_163
; %bb.156:                              ;   in Loop: Header=BB4_93 Depth=3
	s_trap 2
	ds_load_b64 v[112:113], v0
	s_wait_dscnt 0x0
	v_cmp_eq_u64_e32 vcc_lo, 0, v[112:113]
	s_cbranch_vccnz .LBB4_163
; %bb.157:                              ;   in Loop: Header=BB4_93 Depth=3
	s_mov_b32 s10, -1
	s_and_saveexec_b32 s42, s6
	s_cbranch_execz .LBB4_159
; %bb.158:                              ;   in Loop: Header=BB4_93 Depth=3
	ds_load_b32 v34, v0 offset:720
	s_wait_dscnt 0x0
	v_and_b32_e32 v34, 15, v34
	s_delay_alu instid0(VALU_DEP_1)
	v_cmp_eq_u32_e32 vcc_lo, 0, v34
	s_or_not1_b32 s10, vcc_lo, exec_lo
.LBB4_159:                              ;   in Loop: Header=BB4_93 Depth=3
	s_or_b32 exec_lo, exec_lo, s42
	s_and_saveexec_b32 s42, s7
	s_cbranch_execz .LBB4_161
; %bb.160:                              ;   in Loop: Header=BB4_93 Depth=3
	ds_load_b32 v34, v0 offset:784
	s_wait_dscnt 0x0
	v_and_b32_e32 v34, 15, v34
	s_delay_alu instid0(VALU_DEP_1) | instskip(SKIP_3) | instid1(SALU_CYCLE_1)
	v_cmp_eq_u32_e32 vcc_lo, 0, v34
	s_and_b32 s43, s10, vcc_lo
	s_and_not1_b32 s10, s10, exec_lo
	s_and_b32 s43, s43, exec_lo
	s_or_b32 s10, s10, s43
.LBB4_161:                              ;   in Loop: Header=BB4_93 Depth=3
	s_or_b32 exec_lo, exec_lo, s42
	v_cmp_eq_u32_e32 vcc_lo, 0, v9
	s_xor_b32 s10, s10, -1
	v_mov_b32_e32 v114, v66
	v_cndmask_b32_e64 v34, 0, 1, s10
	s_mov_b32 s43, -1
	v_dual_cndmask_b32 v9, 0, v98, vcc_lo :: v_dual_mov_b32 v101, v0
	s_delay_alu instid0(VALU_DEP_2) | instskip(NEXT) | instid1(VALU_DEP_2)
	v_cmp_ne_u32_e32 vcc_lo, 0, v34
	v_dual_mov_b32 v34, 0 :: v_dual_mov_b32 v99, v9
	s_cbranch_vccz .LBB4_164
; %bb.162:                              ;   in Loop: Header=BB4_93 Depth=3
	s_and_saveexec_b32 s10, s43
	s_cbranch_execnz .LBB4_177
	s_branch .LBB4_185
.LBB4_163:                              ;   in Loop: Header=BB4_93 Depth=3
	s_mov_b32 s10, 0
	s_and_saveexec_b32 s42, s1
	s_cbranch_execnz .LBB4_186
	s_branch .LBB4_204
.LBB4_164:                              ;   in Loop: Header=BB4_93 Depth=3
	v_ashrrev_i32_e32 v34, 31, v9
	s_mov_b32 s10, exec_lo
	s_delay_alu instid0(VALU_DEP_1) | instskip(NEXT) | instid1(VALU_DEP_1)
	v_lshrrev_b32_e32 v34, 21, v34
	v_add_nc_u32_e32 v34, v9, v34
	s_delay_alu instid0(VALU_DEP_1) | instskip(NEXT) | instid1(VALU_DEP_1)
	v_ashrrev_i32_e32 v34, 11, v34
	v_sub_nc_u32_e32 v118, v34, v66
	s_delay_alu instid0(VALU_DEP_1)
	v_cmpx_lt_i32_e32 0, v118
	s_cbranch_execz .LBB4_168
; %bb.165:                              ;   in Loop: Header=BB4_93 Depth=3
	v_mov_b64_e32 v[114:115], v[112:113]
	v_mov_b64_e32 v[116:117], v[102:103]
	s_mov_b32 s42, 0
.LBB4_166:                              ;   Parent Loop BB4_53 Depth=1
                                        ;     Parent Loop BB4_89 Depth=2
                                        ;       Parent Loop BB4_93 Depth=3
                                        ; =>      This Inner Loop Header: Depth=4
	s_delay_alu instid0(VALU_DEP_1)
	v_add_nc_u64_e32 v[44:45], v[68:69], v[116:117]
	v_sub_nc_u32_e32 v118, v118, v36
	v_add_nc_u64_e32 v[116:117], v[116:117], v[50:51]
	s_clause 0x3
	global_load_b128 v[40:43], v[44:45], off th:TH_LOAD_NT
	global_load_b128 v[58:61], v[44:45], off offset:512 th:TH_LOAD_NT
	global_load_b128 v[72:75], v[44:45], off offset:1024 th:TH_LOAD_NT
	;; [unrolled: 1-line block ×3, first 2 shown]
	s_wait_xcnt 0x0
	v_add_nc_u64_e32 v[44:45], v[68:69], v[114:115]
	v_cmp_gt_i32_e32 vcc_lo, 1, v118
	v_add_nc_u64_e32 v[114:115], v[114:115], v[50:51]
	s_wait_loadcnt 0x3
	global_store_b128 v[44:45], v[40:43], off th:TH_STORE_NT
	s_wait_loadcnt 0x2
	global_store_b128 v[44:45], v[58:61], off offset:512 th:TH_STORE_NT
	s_wait_loadcnt 0x1
	global_store_b128 v[44:45], v[72:75], off offset:1024 th:TH_STORE_NT
	;; [unrolled: 2-line block ×3, first 2 shown]
	s_or_b32 s42, vcc_lo, s42
	s_wait_xcnt 0x0
	s_and_not1_b32 exec_lo, exec_lo, s42
	s_cbranch_execnz .LBB4_166
; %bb.167:                              ;   in Loop: Header=BB4_93 Depth=3
	s_or_b32 exec_lo, exec_lo, s42
.LBB4_168:                              ;   in Loop: Header=BB4_93 Depth=3
	s_delay_alu instid0(SALU_CYCLE_1) | instskip(SKIP_3) | instid1(VALU_DEP_1)
	s_or_b32 exec_lo, exec_lo, s10
	v_dual_lshlrev_b32 v116, 11, v34 :: v_dual_mov_b32 v34, 0
	s_mov_b32 s43, 0
	s_mov_b32 s42, exec_lo
                                        ; implicit-def: $vgpr99
                                        ; implicit-def: $vgpr101
                                        ; implicit-def: $vgpr114
	v_cmpx_ne_u32_e64 v9, v116
	s_cbranch_execz .LBB4_176
; %bb.169:                              ;   in Loop: Header=BB4_93 Depth=3
	v_dual_lshlrev_b32 v34, 5, v118 :: v_dual_sub_nc_u32 v101, v9, v116
	s_mov_b32 s43, exec_lo
	s_delay_alu instid0(VALU_DEP_1) | instskip(NEXT) | instid1(VALU_DEP_1)
	v_dual_sub_nc_u32 v34, v56, v34 :: v_dual_ashrrev_i32 v114, 31, v101
	v_ashrrev_i32_e32 v99, 31, v34
	s_delay_alu instid0(VALU_DEP_1) | instskip(NEXT) | instid1(VALU_DEP_1)
	v_dual_lshrrev_b32 v114, 23, v114 :: v_dual_lshrrev_b32 v99, 27, v99
	v_add_nc_u32_e32 v99, v34, v99
	s_delay_alu instid0(VALU_DEP_1) | instskip(NEXT) | instid1(VALU_DEP_1)
	v_and_b32_e32 v115, 0xffffffe0, v99
	v_dual_add_nc_u32 v114, v101, v114 :: v_dual_sub_nc_u32 v118, v34, v115
	s_delay_alu instid0(VALU_DEP_1) | instskip(SKIP_1) | instid1(VALU_DEP_2)
	v_and_b32_e32 v117, 0xfffffe00, v114
	v_dual_ashrrev_i32 v115, 5, v99 :: v_dual_ashrrev_i32 v114, 9, v114
	v_dual_lshlrev_b32 v34, 4, v118 :: v_dual_sub_nc_u32 v119, v101, v117
	s_delay_alu instid0(VALU_DEP_1) | instskip(NEXT) | instid1(VALU_DEP_2)
	v_lshl_add_u32 v99, v115, 9, v34
	v_cmp_lt_i32_e32 vcc_lo, 15, v119
	s_delay_alu instid0(VALU_DEP_2) | instskip(SKIP_1) | instid1(VALU_DEP_1)
	v_sub_nc_u32_e32 v34, v101, v99
	v_add_co_ci_u32_e64 v114, null, 0, v114, vcc_lo
	v_sub_nc_u32_e32 v40, v114, v115
	s_delay_alu instid0(VALU_DEP_3)
	v_cmpx_lt_i32_e32 15, v34
	s_cbranch_execz .LBB4_173
; %bb.170:                              ;   in Loop: Header=BB4_93 Depth=3
	v_add_nc_u32_e32 v114, v99, v116
	s_mov_b32 s44, 0
	s_delay_alu instid0(VALU_DEP_1)
	v_ashrrev_i32_e32 v115, 31, v114
.LBB4_171:                              ;   Parent Loop BB4_53 Depth=1
                                        ;     Parent Loop BB4_89 Depth=2
                                        ;       Parent Loop BB4_93 Depth=3
                                        ; =>      This Inner Loop Header: Depth=4
	s_delay_alu instid0(VALU_DEP_1) | instskip(SKIP_4) | instid1(VALU_DEP_4)
	v_add_nc_u64_e32 v[42:43], v[102:103], v[114:115]
	v_sub_nc_u32_e32 v34, v34, v52
	v_add_nc_u64_e32 v[58:59], v[112:113], v[114:115]
	v_add_nc_u64_e32 v[114:115], v[114:115], v[52:53]
	v_sub_nc_u32_e32 v40, v40, v36
	v_cmp_gt_i32_e64 s10, 16, v34
	global_load_b128 v[42:45], v[42:43], off th:TH_LOAD_NT
	s_or_b32 s44, s10, s44
	s_wait_loadcnt 0x0
	global_store_b128 v[58:59], v[42:45], off th:TH_STORE_NT
	s_wait_xcnt 0x0
	s_and_not1_b32 exec_lo, exec_lo, s44
	s_cbranch_execnz .LBB4_171
; %bb.172:                              ;   in Loop: Header=BB4_93 Depth=3
	s_or_b32 exec_lo, exec_lo, s44
.LBB4_173:                              ;   in Loop: Header=BB4_93 Depth=3
	s_delay_alu instid0(SALU_CYCLE_1) | instskip(SKIP_3) | instid1(VALU_DEP_1)
	s_or_b32 exec_lo, exec_lo, s43
	v_dual_mov_b32 v34, 0 :: v_dual_bitop2_b32 v115, 15, v9 bitop3:0x40
	s_mov_b32 s43, 0
	s_mov_b32 s44, exec_lo
                                        ; implicit-def: $vgpr101
                                        ; implicit-def: $vgpr114
	v_cndmask_b32_e32 v99, v119, v115, vcc_lo
	s_delay_alu instid0(VALU_DEP_1)
	v_cmpx_ne_u32_e32 0, v99
	s_cbranch_execz .LBB4_175
; %bb.174:                              ;   in Loop: Header=BB4_93 Depth=3
	v_cmp_lt_i32_e64 s10, 0, v40
	s_mov_b32 s43, exec_lo
	v_dual_sub_nc_u32 v114, v119, v115 :: v_dual_cndmask_b32 v34, 0, v36, s10
	s_delay_alu instid0(VALU_DEP_1) | instskip(NEXT) | instid1(VALU_DEP_1)
	v_dual_cndmask_b32 v114, 0, v114, vcc_lo :: v_dual_sub_nc_u32 v34, v34, v40
	v_lshl_add_u32 v101, v34, 5, v118
	s_delay_alu instid0(VALU_DEP_1) | instskip(NEXT) | instid1(VALU_DEP_1)
	v_ashrrev_i32_e32 v34, 31, v101
	v_lshrrev_b32_e32 v34, 27, v34
	s_delay_alu instid0(VALU_DEP_1) | instskip(SKIP_1) | instid1(VALU_DEP_2)
	v_add_nc_u32_e32 v115, v101, v34
	v_add3_u32 v34, v117, v116, v114
	v_ashrrev_i32_e32 v114, 5, v115
.LBB4_175:                              ;   in Loop: Header=BB4_93 Depth=3
	s_or_b32 exec_lo, exec_lo, s44
	s_delay_alu instid0(SALU_CYCLE_1)
	s_and_b32 s43, s43, exec_lo
.LBB4_176:                              ;   in Loop: Header=BB4_93 Depth=3
	s_or_b32 exec_lo, exec_lo, s42
	s_and_saveexec_b32 s10, s43
	s_cbranch_execz .LBB4_185
.LBB4_177:                              ;   in Loop: Header=BB4_93 Depth=3
	v_ashrrev_i32_e32 v115, 31, v99
	s_mov_b32 s42, exec_lo
	s_delay_alu instid0(VALU_DEP_1) | instskip(NEXT) | instid1(VALU_DEP_1)
	v_lshrrev_b32_e32 v115, 23, v115
	v_add_nc_u32_e32 v115, v99, v115
	s_delay_alu instid0(VALU_DEP_1) | instskip(NEXT) | instid1(VALU_DEP_1)
	v_dual_ashrrev_i32 v118, 9, v115 :: v_dual_ashrrev_i32 v115, 31, v101
	v_dual_sub_nc_u32 v116, v118, v114 :: v_dual_lshrrev_b32 v117, 27, v115
	s_delay_alu instid0(VALU_DEP_1)
	v_cmpx_lt_i32_e32 0, v116
	s_cbranch_execz .LBB4_181
; %bb.178:                              ;   in Loop: Header=BB4_93 Depth=3
	s_delay_alu instid0(VALU_DEP_2) | instskip(SKIP_1) | instid1(VALU_DEP_1)
	v_dual_add_nc_u32 v115, v101, v117 :: v_dual_lshlrev_b32 v114, 9, v114
	s_mov_b32 s43, 0
	v_and_b32_e32 v115, 0xffffffe0, v115
	s_delay_alu instid0(VALU_DEP_1) | instskip(NEXT) | instid1(VALU_DEP_1)
	v_sub_nc_u32_e32 v115, v101, v115
	v_add3_u32 v114, v34, v115, v114
	s_delay_alu instid0(VALU_DEP_1)
	v_ashrrev_i32_e32 v115, 31, v114
.LBB4_179:                              ;   Parent Loop BB4_53 Depth=1
                                        ;     Parent Loop BB4_89 Depth=2
                                        ;       Parent Loop BB4_93 Depth=3
                                        ; =>      This Inner Loop Header: Depth=4
	s_delay_alu instid0(VALU_DEP_1)
	v_add_nc_u64_e32 v[40:41], v[114:115], v[102:103]
	v_sub_nc_u32_e32 v116, v116, v36
	v_add_nc_u64_e32 v[102:103], v[102:103], v[52:53]
	s_clause 0xf
	flat_load_u8 v119, v[40:41] th:TH_LOAD_NT
	flat_load_u8 v42, v[40:41] offset:32 th:TH_LOAD_NT
	flat_load_u8 v43, v[40:41] offset:64 th:TH_LOAD_NT
	;; [unrolled: 1-line block ×15, first 2 shown]
	s_wait_xcnt 0x0
	v_add_nc_u64_e32 v[40:41], v[114:115], v[112:113]
	v_add_nc_u64_e32 v[112:113], v[112:113], v[52:53]
	v_cmp_gt_i32_e32 vcc_lo, 1, v116
	s_wait_loadcnt_dscnt 0xf0f
	flat_store_b8 v[40:41], v119 th:TH_STORE_NT
	s_wait_loadcnt_dscnt 0xe0f
	flat_store_b8 v[40:41], v42 offset:32 th:TH_STORE_NT
	s_wait_loadcnt_dscnt 0xd0f
	flat_store_b8 v[40:41], v43 offset:64 th:TH_STORE_NT
	;; [unrolled: 2-line block ×15, first 2 shown]
	s_or_b32 s43, vcc_lo, s43
	s_wait_xcnt 0x0
	s_and_not1_b32 exec_lo, exec_lo, s43
	s_cbranch_execnz .LBB4_179
; %bb.180:                              ;   in Loop: Header=BB4_93 Depth=3
	s_or_b32 exec_lo, exec_lo, s43
.LBB4_181:                              ;   in Loop: Header=BB4_93 Depth=3
	s_delay_alu instid0(SALU_CYCLE_1) | instskip(SKIP_1) | instid1(VALU_DEP_1)
	s_or_b32 exec_lo, exec_lo, s42
	v_lshlrev_b32_e32 v102, 9, v118
	v_cmp_ne_u32_e32 vcc_lo, v99, v102
	s_and_b32 exec_lo, exec_lo, vcc_lo
	s_cbranch_execz .LBB4_185
; %bb.182:                              ;   in Loop: Header=BB4_93 Depth=3
	v_add_nc_u32_e32 v103, v101, v117
	s_delay_alu instid0(VALU_DEP_1) | instskip(NEXT) | instid1(VALU_DEP_1)
	v_and_b32_e32 v103, 0xffffffe0, v103
	v_dual_sub_nc_u32 v101, v101, v103 :: v_dual_lshlrev_b32 v103, 5, v116
	s_delay_alu instid0(VALU_DEP_1) | instskip(NEXT) | instid1(VALU_DEP_1)
	v_sub_nc_u32_e32 v101, v101, v103
	v_add_nc_u32_e32 v101, v102, v101
	s_delay_alu instid0(VALU_DEP_1) | instskip(NEXT) | instid1(VALU_DEP_1)
	v_sub_nc_u32_e32 v99, v99, v101
	v_cmp_lt_i32_e32 vcc_lo, 0, v99
	s_and_b32 exec_lo, exec_lo, vcc_lo
	s_cbranch_execz .LBB4_185
; %bb.183:                              ;   in Loop: Header=BB4_93 Depth=3
	s_trap 2
	ds_load_b64 v[102:103], v0
	v_add_nc_u32_e32 v112, v101, v34
	s_mov_b32 s42, 0
	s_delay_alu instid0(VALU_DEP_1)
	v_ashrrev_i32_e32 v113, 31, v112
.LBB4_184:                              ;   Parent Loop BB4_53 Depth=1
                                        ;     Parent Loop BB4_89 Depth=2
                                        ;       Parent Loop BB4_93 Depth=3
                                        ; =>      This Inner Loop Header: Depth=4
	s_wait_dscnt 0x0
	s_delay_alu instid0(VALU_DEP_1) | instskip(SKIP_2) | instid1(VALU_DEP_2)
	v_add_nc_u64_e32 v[114:115], v[102:103], v[112:113]
	v_sub_nc_u32_e32 v99, v99, v38
	v_add_nc_u64_e32 v[112:113], v[112:113], v[38:39]
	v_cmp_gt_i32_e32 vcc_lo, 1, v99
	flat_load_u8 v34, v[114:115] th:TH_LOAD_NT
	s_or_b32 s42, vcc_lo, s42
	s_wait_loadcnt_dscnt 0x0
	flat_store_b8 v[114:115], v34 th:TH_STORE_NT
	s_wait_xcnt 0x0
	s_and_not1_b32 exec_lo, exec_lo, s42
	s_cbranch_execnz .LBB4_184
.LBB4_185:                              ;   in Loop: Header=BB4_93 Depth=3
	s_or_b32 exec_lo, exec_lo, s10
	v_cmp_lt_i32_e64 s10, 0, v9
	s_and_saveexec_b32 s42, s1
	s_cbranch_execz .LBB4_204
.LBB4_186:                              ;   in Loop: Header=BB4_93 Depth=3
	s_and_saveexec_b32 s43, s2
	s_delay_alu instid0(SALU_CYCLE_1)
	s_xor_b32 s43, exec_lo, s43
	s_cbranch_execz .LBB4_201
; %bb.187:                              ;   in Loop: Header=BB4_93 Depth=3
	s_and_saveexec_b32 s44, s5
	s_cbranch_execz .LBB4_200
; %bb.188:                              ;   in Loop: Header=BB4_93 Depth=3
	s_mov_b32 s46, exec_lo
	s_mov_b32 s45, exec_lo
	v_mbcnt_lo_u32_b32 v9, s46, 0
	global_wb scope:SCOPE_DEV
	s_wait_storecnt 0x0
	s_wait_loadcnt_dscnt 0x0
	global_inv scope:SCOPE_DEV
	v_cmpx_eq_u32_e32 0, v9
	s_cbranch_execz .LBB4_190
; %bb.189:                              ;   in Loop: Header=BB4_93 Depth=3
	s_bcnt1_i32_b32 s46, s46
	s_delay_alu instid0(SALU_CYCLE_1)
	v_mov_b32_e32 v34, s46
	s_wait_loadcnt 0x0
	ds_add_u64 v0, v[34:35]
	s_trap 2
.LBB4_190:                              ;   in Loop: Header=BB4_93 Depth=3
	s_or_b32 exec_lo, exec_lo, s45
	s_trap 2
	ds_load_b64 v[102:103], v0
	s_wait_dscnt 0x0
	v_add_nc_u64_e32 v[10:11], v[10:11], v[36:37]
	s_mov_b32 s45, exec_lo
	s_delay_alu instid0(VALU_DEP_1)
	v_cmpx_lt_u64_e64 v[102:103], v[10:11]
	s_cbranch_execz .LBB4_199
; %bb.191:                              ;   in Loop: Header=BB4_93 Depth=3
	s_mov_b32 s46, 0
	s_mov_b32 s57, 0
                                        ; implicit-def: $sgpr47
                                        ; implicit-def: $sgpr56
	s_branch .LBB4_193
.LBB4_192:                              ;   in Loop: Header=BB4_193 Depth=4
	s_or_b32 exec_lo, exec_lo, s59
	s_delay_alu instid0(SALU_CYCLE_1) | instskip(NEXT) | instid1(SALU_CYCLE_1)
	s_and_b32 s58, exec_lo, s60
	s_or_b32 s46, s58, s46
	s_and_not1_b32 s47, s47, exec_lo
	s_and_b32 s58, s56, exec_lo
	s_delay_alu instid0(SALU_CYCLE_1)
	s_or_b32 s47, s47, s58
	s_and_not1_b32 exec_lo, exec_lo, s46
	s_cbranch_execz .LBB4_197
.LBB4_193:                              ;   Parent Loop BB4_53 Depth=1
                                        ;     Parent Loop BB4_89 Depth=2
                                        ;       Parent Loop BB4_93 Depth=3
                                        ; =>      This Inner Loop Header: Depth=4
	s_add_co_i32 s57, s57, 1
	s_delay_alu instid0(SALU_CYCLE_1) | instskip(SKIP_1) | instid1(SALU_CYCLE_1)
	s_cmp_lg_u32 s57, 0x2710
	s_cselect_b32 s58, -1, 0
	s_and_b32 vcc_lo, exec_lo, s58
	s_cbranch_vccz .LBB4_195
; %bb.194:                              ;   in Loop: Header=BB4_193 Depth=4
	s_mov_b32 s60, -1
	s_or_b32 s56, s56, exec_lo
	s_and_saveexec_b32 s59, s58
	s_cbranch_execz .LBB4_192
	s_branch .LBB4_196
.LBB4_195:                              ;   in Loop: Header=BB4_193 Depth=4
	s_trap 2
	ds_load_b64 v[102:103], v0
	s_and_not1_b32 s58, s58, exec_lo
	s_mov_b32 s57, 0
	s_wait_loadcnt_dscnt 0x0
	flat_load_b32 v9, v[102:103] scope:SCOPE_SYS
	s_wait_loadcnt_dscnt 0x0
	global_inv scope:SCOPE_SYS
	v_cmp_eq_u32_e32 vcc_lo, 0, v9
	s_and_b32 s59, vcc_lo, exec_lo
	s_delay_alu instid0(SALU_CYCLE_1)
	s_or_b32 s58, s58, s59
	s_mov_b32 s60, -1
	s_or_b32 s56, s56, exec_lo
	s_and_saveexec_b32 s59, s58
	s_cbranch_execz .LBB4_192
.LBB4_196:                              ;   in Loop: Header=BB4_193 Depth=4
	s_sleep 1
	s_trap 2
	ds_load_b64 v[102:103], v0
	s_wait_dscnt 0x0
	s_and_not1_b32 s56, s56, exec_lo
	v_cmp_ge_u64_e32 vcc_lo, v[102:103], v[10:11]
	s_or_not1_b32 s60, vcc_lo, exec_lo
	s_branch .LBB4_192
.LBB4_197:                              ;   in Loop: Header=BB4_93 Depth=3
	s_or_b32 exec_lo, exec_lo, s46
	s_and_saveexec_b32 s46, s47
	s_delay_alu instid0(SALU_CYCLE_1)
	s_xor_b32 s46, exec_lo, s46
	s_cbranch_execz .LBB4_199
; %bb.198:                              ;   in Loop: Header=BB4_93 Depth=3
	ds_store_b32 v0, v47
	s_trap 2
.LBB4_199:                              ;   in Loop: Header=BB4_93 Depth=3
	s_or_b32 exec_lo, exec_lo, s45
	;;#ASMSTART
	s_wakeup
	;;#ASMEND
.LBB4_200:                              ;   in Loop: Header=BB4_93 Depth=3
	s_or_b32 exec_lo, exec_lo, s44
.LBB4_201:                              ;   in Loop: Header=BB4_93 Depth=3
	s_and_not1_saveexec_b32 s43, s43
	s_cbranch_execz .LBB4_203
; %bb.202:                              ;   in Loop: Header=BB4_93 Depth=3
	global_wb scope:SCOPE_DEV
	s_wait_storecnt 0x0
	s_wait_loadcnt_dscnt 0x0
	global_inv scope:SCOPE_DEV
	s_barrier_signal -1
	s_barrier_wait -1
.LBB4_203:                              ;   in Loop: Header=BB4_93 Depth=3
	s_or_b32 exec_lo, exec_lo, s43
.LBB4_204:                              ;   in Loop: Header=BB4_93 Depth=3
	s_delay_alu instid0(SALU_CYCLE_1) | instskip(SKIP_1) | instid1(VALU_DEP_1)
	s_or_b32 exec_lo, exec_lo, s42
	v_and_b32_e32 v9, 16, v80
	v_cmp_ne_u32_e32 vcc_lo, 0, v9
	s_and_b32 s42, vcc_lo, s10
	s_delay_alu instid0(SALU_CYCLE_1)
	s_and_saveexec_b32 s10, s42
	s_cbranch_execz .LBB4_206
; %bb.205:                              ;   in Loop: Header=BB4_93 Depth=3
	global_wb scope:SCOPE_SYS
	s_wait_storecnt 0x0
	s_wait_loadcnt_dscnt 0x0
	global_inv scope:SCOPE_SYS
.LBB4_206:                              ;   in Loop: Header=BB4_93 Depth=3
	s_or_b32 exec_lo, exec_lo, s10
	s_delay_alu instid0(SALU_CYCLE_1)
	s_mov_b32 s10, exec_lo
	v_cmpx_ne_u32_e32 0, v9
	s_cbranch_execz .LBB4_92
; %bb.207:                              ;   in Loop: Header=BB4_93 Depth=3
	s_and_saveexec_b32 s42, s4
	s_cbranch_execz .LBB4_91
; %bb.208:                              ;   in Loop: Header=BB4_93 Depth=3
	global_wb scope:SCOPE_SYS
	s_wait_storecnt 0x0
	s_wait_loadcnt_dscnt 0x0
	flat_store_b32 v[24:25], v47 scope:SCOPE_SYS
	s_branch .LBB4_91
.LBB4_209:                              ;   in Loop: Header=BB4_89 Depth=2
	s_or_b32 exec_lo, exec_lo, s29
.LBB4_210:                              ;   in Loop: Header=BB4_89 Depth=2
	s_delay_alu instid0(SALU_CYCLE_1) | instskip(NEXT) | instid1(SALU_CYCLE_1)
	s_or_b32 exec_lo, exec_lo, s28
	s_mov_b32 s28, exec_lo
	v_cmpx_gt_i32_e32 2, v9
	s_cbranch_execz .LBB4_261
; %bb.211:                              ;   in Loop: Header=BB4_89 Depth=2
	v_cmp_eq_u32_e64 s40, 0, v9
	s_mov_b32 s29, 0
	s_branch .LBB4_214
.LBB4_212:                              ;   in Loop: Header=BB4_214 Depth=3
	s_wait_xcnt 0x0
	s_or_b32 exec_lo, exec_lo, s40
	v_add_nc_u64_e32 v[82:83], 2, v[82:83]
	global_wb scope:SCOPE_SYS
	s_wait_storecnt 0x0
	s_wait_loadcnt_dscnt 0x0
	flat_store_b64 v[18:19], v[82:83] scope:SCOPE_SYS
.LBB4_213:                              ;   in Loop: Header=BB4_214 Depth=3
	s_wait_xcnt 0x0
	s_or_b32 exec_lo, exec_lo, s10
	v_add_nc_u32_e32 v100, v98, v100
	s_mov_b32 s40, 0
	s_and_not1_b32 exec_lo, exec_lo, s29
	s_cbranch_execz .LBB4_260
.LBB4_214:                              ;   Parent Loop BB4_53 Depth=1
                                        ;     Parent Loop BB4_89 Depth=2
                                        ; =>    This Loop Header: Depth=3
                                        ;         Child Loop BB4_220 Depth 4
                                        ;         Child Loop BB4_244 Depth 4
	s_delay_alu instid0(VALU_DEP_1) | instskip(SKIP_2) | instid1(VALU_DEP_2)
	v_sub_nc_u32_e32 v9, v8, v100
	v_and_b32_e32 v34, 8, v80
	s_mov_b32 s41, exec_lo
	v_min_i32_e32 v98, v98, v9
	s_delay_alu instid0(VALU_DEP_2)
	v_cmpx_ne_u32_e32 0, v34
	s_cbranch_execz .LBB4_236
; %bb.215:                              ;   in Loop: Header=BB4_214 Depth=3
	s_wait_loadcnt 0x0
	v_add_nc_u64_e32 v[112:113], 8, v[26:27]
	v_add_nc_u64_e32 v[102:103], 2, v[82:83]
	s_mov_b32 s42, exec_lo
	s_delay_alu instid0(VALU_DEP_1)
	v_cmpx_lt_u64_e64 v[112:113], v[102:103]
	s_cbranch_execz .LBB4_227
; %bb.216:                              ;   in Loop: Header=BB4_214 Depth=3
	v_and_b32_e32 v9, 64, v80
	s_mov_b32 s43, 0
	s_mov_b32 s47, 0
                                        ; implicit-def: $sgpr44
                                        ; implicit-def: $sgpr45
                                        ; implicit-def: $sgpr46
	s_delay_alu instid0(VALU_DEP_1)
	v_cmp_eq_u32_e32 vcc_lo, 0, v9
	s_branch .LBB4_220
.LBB4_217:                              ;   in Loop: Header=BB4_220 Depth=4
	s_wait_loadcnt_dscnt 0x0
	v_add_nc_u64_e32 v[112:113], 8, v[26:27]
	s_or_b32 s58, s58, exec_lo
	s_delay_alu instid0(VALU_DEP_1)
	v_cmp_ge_u64_e64 s10, v[112:113], v[102:103]
	s_or_not1_b32 s57, s10, exec_lo
.LBB4_218:                              ;   in Loop: Header=BB4_220 Depth=4
	s_or_b32 exec_lo, exec_lo, s60
	s_delay_alu instid0(SALU_CYCLE_1)
	s_and_not1_b32 s10, s46, exec_lo
	s_and_b32 s46, s58, exec_lo
	s_and_not1_b32 s45, s45, exec_lo
	s_and_b32 s57, s57, exec_lo
	s_or_b32 s46, s10, s46
	s_or_b32 s45, s45, s57
.LBB4_219:                              ;   in Loop: Header=BB4_220 Depth=4
	s_or_b32 exec_lo, exec_lo, s56
	s_delay_alu instid0(SALU_CYCLE_1) | instskip(NEXT) | instid1(SALU_CYCLE_1)
	s_and_b32 s10, exec_lo, s45
	s_or_b32 s43, s10, s43
	s_and_not1_b32 s10, s44, exec_lo
	s_and_b32 s44, s46, exec_lo
	s_delay_alu instid0(SALU_CYCLE_1)
	s_or_b32 s44, s10, s44
	s_and_not1_b32 exec_lo, exec_lo, s43
	s_cbranch_execz .LBB4_224
.LBB4_220:                              ;   Parent Loop BB4_53 Depth=1
                                        ;     Parent Loop BB4_89 Depth=2
                                        ;       Parent Loop BB4_214 Depth=3
                                        ; =>      This Inner Loop Header: Depth=4
	s_sleep 1
	s_wait_loadcnt_dscnt 0x0
	flat_load_b64 v[26:27], v[18:19] scope:SCOPE_SYS
	s_or_b32 s46, s46, exec_lo
	s_or_b32 s45, s45, exec_lo
                                        ; implicit-def: $vgpr9
	s_wait_xcnt 0x0
	s_and_saveexec_b32 s56, vcc_lo
	s_cbranch_execz .LBB4_219
; %bb.221:                              ;   in Loop: Header=BB4_220 Depth=4
	s_cmp_lt_i32 s47, 0x270f
	s_mov_b32 s57, -1
	s_cselect_b32 s59, -1, 0
	s_cmp_gt_i32 s47, 0x270e
	s_cbranch_scc0 .LBB4_223
; %bb.222:                              ;   in Loop: Header=BB4_220 Depth=4
	s_trap 2
	ds_load_b64 v[112:113], v0
	s_and_not1_b32 s47, s59, exec_lo
	s_mov_b32 s58, 0
	s_wait_storecnt 0x0
	s_wait_loadcnt_dscnt 0x0
	flat_load_b32 v9, v[112:113] scope:SCOPE_SYS
	s_wait_loadcnt_dscnt 0x0
	global_inv scope:SCOPE_SYS
	v_cmp_eq_u32_e64 s10, 0, v9
	s_and_b32 s10, s10, exec_lo
	s_delay_alu instid0(SALU_CYCLE_1)
	s_or_b32 s59, s47, s10
	s_mov_b32 s47, 0
	s_and_saveexec_b32 s60, s59
	s_cbranch_execz .LBB4_218
	s_branch .LBB4_217
.LBB4_223:                              ;   in Loop: Header=BB4_220 Depth=4
	s_add_co_i32 s47, s47, 1
	s_mov_b32 s58, -1
                                        ; implicit-def: $vgpr9
	s_and_saveexec_b32 s60, s59
	s_cbranch_execz .LBB4_218
	s_branch .LBB4_217
.LBB4_224:                              ;   in Loop: Header=BB4_214 Depth=3
	s_or_b32 exec_lo, exec_lo, s43
	s_xor_b32 s10, s44, -1
	s_delay_alu instid0(SALU_CYCLE_1) | instskip(NEXT) | instid1(SALU_CYCLE_1)
	s_and_saveexec_b32 s43, s10
	s_xor_b32 s10, exec_lo, s43
	s_cbranch_execz .LBB4_226
; %bb.225:                              ;   in Loop: Header=BB4_214 Depth=3
	v_or_b32_e32 v80, 64, v80
	s_wait_storecnt 0x0
	s_wait_loadcnt_dscnt 0x0
	ds_store_b32 v0, v9
	s_trap 2
.LBB4_226:                              ;   in Loop: Header=BB4_214 Depth=3
	s_or_b32 exec_lo, exec_lo, s10
.LBB4_227:                              ;   in Loop: Header=BB4_214 Depth=3
	s_delay_alu instid0(SALU_CYCLE_1)
	s_or_b32 exec_lo, exec_lo, s42
	v_and_b32_e32 v9, 0x100, v80
	v_and_b32_e32 v34, 7, v82
	s_mov_b32 s10, -1
	s_mov_b32 s42, exec_lo
	;;#ASMSTART
	s_wakeup
	;;#ASMEND
                                        ; implicit-def: $vgpr82_vgpr83
	v_cmpx_ne_u32_e32 0, v9
	s_cbranch_execz .LBB4_231
; %bb.228:                              ;   in Loop: Header=BB4_214 Depth=3
	v_mad_nc_u64_u32 v[112:113], v34, 24, v[4:5]
	v_ashrrev_i32_e32 v99, 31, v98
	s_mov_b32 s43, exec_lo
                                        ; implicit-def: $vgpr82_vgpr83
	s_clause 0x1
	flat_load_b32 v9, v[112:113]
	flat_store_b64 v[112:113], v[98:99] offset:8
	s_wait_loadcnt_dscnt 0x1
	v_cmp_ne_u32_e32 vcc_lo, 1, v9
	s_wait_xcnt 0x0
	v_cmpx_eq_u32_e32 1, v9
	s_cbranch_execz .LBB4_230
; %bb.229:                              ;   in Loop: Header=BB4_214 Depth=3
	flat_load_b32 v82, v[112:113] offset:4 scope:SCOPE_SYS
	s_wait_loadcnt_dscnt 0x0
	v_ashrrev_i32_e32 v83, 31, v82
.LBB4_230:                              ;   in Loop: Header=BB4_214 Depth=3
	s_wait_xcnt 0x0
	s_or_b32 exec_lo, exec_lo, s43
	s_delay_alu instid0(SALU_CYCLE_1)
	s_or_not1_b32 s10, vcc_lo, exec_lo
.LBB4_231:                              ;   in Loop: Header=BB4_214 Depth=3
	s_or_b32 exec_lo, exec_lo, s42
	s_and_saveexec_b32 s42, s10
; %bb.232:                              ;   in Loop: Header=BB4_214 Depth=3
	v_mul_u64_e32 v[82:83], v[34:35], v[20:21]
; %bb.233:                              ;   in Loop: Header=BB4_214 Depth=3
	s_or_b32 exec_lo, exec_lo, s42
	s_delay_alu instid0(VALU_DEP_1)
	v_add_nc_u64_e32 v[82:83], v[22:23], v[82:83]
	v_and_b32_e32 v9, 0x2000, v80
	s_mov_b32 s10, exec_lo
	ds_store_b64 v0, v[82:83] offset:784
	v_cmpx_ne_u32_e32 0, v9
	s_cbranch_execz .LBB4_235
; %bb.234:                              ;   in Loop: Header=BB4_214 Depth=3
	ds_load_b64 v[82:83], v0 offset:872
	s_wait_dscnt 0x0
	v_add_nc_u64_e32 v[82:83], 1, v[82:83]
	ds_store_b64 v0, v[82:83] offset:872
.LBB4_235:                              ;   in Loop: Header=BB4_214 Depth=3
	s_or_b32 exec_lo, exec_lo, s10
	v_mov_b64_e32 v[82:83], v[102:103]
.LBB4_236:                              ;   in Loop: Header=BB4_214 Depth=3
	s_or_b32 exec_lo, exec_lo, s41
	s_xor_b32 s10, s40, -1
	s_delay_alu instid0(SALU_CYCLE_1) | instskip(NEXT) | instid1(SALU_CYCLE_1)
	s_and_b32 s10, exec_lo, s10
	s_or_b32 s29, s10, s29
	s_and_saveexec_b32 s10, s1
	s_cbranch_execz .LBB4_255
; %bb.237:                              ;   in Loop: Header=BB4_214 Depth=3
	s_and_saveexec_b32 s40, s2
	s_delay_alu instid0(SALU_CYCLE_1)
	s_xor_b32 s40, exec_lo, s40
	s_cbranch_execz .LBB4_252
; %bb.238:                              ;   in Loop: Header=BB4_214 Depth=3
	s_and_saveexec_b32 s41, s5
	s_cbranch_execz .LBB4_251
; %bb.239:                              ;   in Loop: Header=BB4_214 Depth=3
	s_mov_b32 s43, exec_lo
	s_mov_b32 s42, exec_lo
	v_mbcnt_lo_u32_b32 v9, s43, 0
	global_wb scope:SCOPE_DEV
	s_wait_storecnt 0x0
	s_wait_loadcnt_dscnt 0x0
	global_inv scope:SCOPE_DEV
	v_cmpx_eq_u32_e32 0, v9
	s_cbranch_execz .LBB4_241
; %bb.240:                              ;   in Loop: Header=BB4_214 Depth=3
	s_bcnt1_i32_b32 s43, s43
	s_delay_alu instid0(SALU_CYCLE_1)
	v_mov_b32_e32 v34, s43
	s_wait_loadcnt 0x0
	ds_add_u64 v0, v[34:35]
	s_trap 2
.LBB4_241:                              ;   in Loop: Header=BB4_214 Depth=3
	s_or_b32 exec_lo, exec_lo, s42
	s_trap 2
	ds_load_b64 v[102:103], v0
	s_wait_dscnt 0x0
	v_add_nc_u64_e32 v[10:11], v[10:11], v[36:37]
	s_mov_b32 s42, exec_lo
	s_delay_alu instid0(VALU_DEP_1)
	v_cmpx_lt_u64_e64 v[102:103], v[10:11]
	s_cbranch_execz .LBB4_250
; %bb.242:                              ;   in Loop: Header=BB4_214 Depth=3
	s_mov_b32 s43, 0
	s_mov_b32 s46, 0
                                        ; implicit-def: $sgpr44
                                        ; implicit-def: $sgpr45
	s_branch .LBB4_244
.LBB4_243:                              ;   in Loop: Header=BB4_244 Depth=4
	s_or_b32 exec_lo, exec_lo, s56
	s_delay_alu instid0(SALU_CYCLE_1) | instskip(NEXT) | instid1(SALU_CYCLE_1)
	s_and_b32 s47, exec_lo, s57
	s_or_b32 s43, s47, s43
	s_and_not1_b32 s44, s44, exec_lo
	s_and_b32 s47, s45, exec_lo
	s_delay_alu instid0(SALU_CYCLE_1)
	s_or_b32 s44, s44, s47
	s_and_not1_b32 exec_lo, exec_lo, s43
	s_cbranch_execz .LBB4_248
.LBB4_244:                              ;   Parent Loop BB4_53 Depth=1
                                        ;     Parent Loop BB4_89 Depth=2
                                        ;       Parent Loop BB4_214 Depth=3
                                        ; =>      This Inner Loop Header: Depth=4
	s_add_co_i32 s46, s46, 1
	s_delay_alu instid0(SALU_CYCLE_1) | instskip(SKIP_1) | instid1(SALU_CYCLE_1)
	s_cmp_lg_u32 s46, 0x2710
	s_cselect_b32 s47, -1, 0
	s_and_b32 vcc_lo, exec_lo, s47
	s_cbranch_vccz .LBB4_246
; %bb.245:                              ;   in Loop: Header=BB4_244 Depth=4
	s_mov_b32 s57, -1
	s_or_b32 s45, s45, exec_lo
	s_and_saveexec_b32 s56, s47
	s_cbranch_execz .LBB4_243
	s_branch .LBB4_247
.LBB4_246:                              ;   in Loop: Header=BB4_244 Depth=4
	s_trap 2
	ds_load_b64 v[102:103], v0
	s_and_not1_b32 s47, s47, exec_lo
	s_mov_b32 s46, 0
	s_wait_loadcnt_dscnt 0x0
	flat_load_b32 v9, v[102:103] scope:SCOPE_SYS
	s_wait_loadcnt_dscnt 0x0
	global_inv scope:SCOPE_SYS
	v_cmp_eq_u32_e32 vcc_lo, 0, v9
	s_and_b32 s56, vcc_lo, exec_lo
	s_delay_alu instid0(SALU_CYCLE_1)
	s_or_b32 s47, s47, s56
	s_mov_b32 s57, -1
	s_or_b32 s45, s45, exec_lo
	s_and_saveexec_b32 s56, s47
	s_cbranch_execz .LBB4_243
.LBB4_247:                              ;   in Loop: Header=BB4_244 Depth=4
	s_sleep 1
	s_trap 2
	ds_load_b64 v[102:103], v0
	s_wait_dscnt 0x0
	s_and_not1_b32 s45, s45, exec_lo
	v_cmp_ge_u64_e32 vcc_lo, v[102:103], v[10:11]
	s_or_not1_b32 s57, vcc_lo, exec_lo
	s_branch .LBB4_243
.LBB4_248:                              ;   in Loop: Header=BB4_214 Depth=3
	s_or_b32 exec_lo, exec_lo, s43
	s_and_saveexec_b32 s43, s44
	s_delay_alu instid0(SALU_CYCLE_1)
	s_xor_b32 s43, exec_lo, s43
	s_cbranch_execz .LBB4_250
; %bb.249:                              ;   in Loop: Header=BB4_214 Depth=3
	ds_store_b32 v0, v47
	s_trap 2
.LBB4_250:                              ;   in Loop: Header=BB4_214 Depth=3
	s_or_b32 exec_lo, exec_lo, s42
	;;#ASMSTART
	s_wakeup
	;;#ASMEND
.LBB4_251:                              ;   in Loop: Header=BB4_214 Depth=3
	s_or_b32 exec_lo, exec_lo, s41
.LBB4_252:                              ;   in Loop: Header=BB4_214 Depth=3
	s_and_not1_saveexec_b32 s40, s40
	s_cbranch_execz .LBB4_254
; %bb.253:                              ;   in Loop: Header=BB4_214 Depth=3
	global_wb scope:SCOPE_DEV
	s_wait_storecnt 0x0
	s_wait_loadcnt_dscnt 0x0
	global_inv scope:SCOPE_DEV
	s_barrier_signal -1
	s_barrier_wait -1
.LBB4_254:                              ;   in Loop: Header=BB4_214 Depth=3
	s_or_b32 exec_lo, exec_lo, s40
.LBB4_255:                              ;   in Loop: Header=BB4_214 Depth=3
	s_delay_alu instid0(SALU_CYCLE_1)
	s_or_b32 exec_lo, exec_lo, s10
	s_trap 2
	ds_load_b32 v9, v0
	v_cmp_lt_i32_e32 vcc_lo, 0, v98
	s_wait_dscnt 0x0
	v_readfirstlane_b32 s10, v9
	v_and_b32_e32 v9, 16, v80
	s_cmp_eq_u32 s10, 0
	s_delay_alu instid0(VALU_DEP_1) | instskip(SKIP_1) | instid1(SALU_CYCLE_1)
	v_cmp_ne_u32_e64 s10, 0, v9
	s_cselect_b32 s40, -1, 0
	s_and_b32 s40, vcc_lo, s40
	s_delay_alu instid0(SALU_CYCLE_1) | instskip(NEXT) | instid1(SALU_CYCLE_1)
	s_and_b32 s40, s10, s40
	s_and_saveexec_b32 s10, s40
	s_cbranch_execz .LBB4_257
; %bb.256:                              ;   in Loop: Header=BB4_214 Depth=3
	global_wb scope:SCOPE_SYS
	s_wait_loadcnt 0x0
	s_wait_storecnt 0x0
	global_inv scope:SCOPE_SYS
.LBB4_257:                              ;   in Loop: Header=BB4_214 Depth=3
	s_or_b32 exec_lo, exec_lo, s10
	s_delay_alu instid0(SALU_CYCLE_1)
	s_mov_b32 s10, exec_lo
	v_cmpx_ne_u32_e32 0, v9
	s_cbranch_execz .LBB4_213
; %bb.258:                              ;   in Loop: Header=BB4_214 Depth=3
	s_and_saveexec_b32 s40, s4
	s_cbranch_execz .LBB4_212
; %bb.259:                              ;   in Loop: Header=BB4_214 Depth=3
	global_wb scope:SCOPE_SYS
	s_wait_loadcnt 0x0
	s_wait_storecnt 0x0
	flat_store_b32 v[24:25], v47 scope:SCOPE_SYS
	s_branch .LBB4_212
.LBB4_260:                              ;   in Loop: Header=BB4_89 Depth=2
	s_or_b32 exec_lo, exec_lo, s29
.LBB4_261:                              ;   in Loop: Header=BB4_89 Depth=2
	s_delay_alu instid0(SALU_CYCLE_1) | instskip(NEXT) | instid1(SALU_CYCLE_1)
	s_or_b32 exec_lo, exec_lo, s28
	s_and_not1_b32 vcc_lo, exec_lo, s26
	s_cbranch_vccnz .LBB4_444
; %bb.262:                              ;   in Loop: Header=BB4_89 Depth=2
	v_max_i32_e32 v114, 0, v8
	s_mov_b32 s28, 0
	s_delay_alu instid0(VALU_DEP_1) | instskip(NEXT) | instid1(VALU_DEP_1)
	v_add_nc_u32_e32 v8, 31, v114
	v_lshrrev_b32_e32 v8, 1, v8
	s_delay_alu instid0(VALU_DEP_1) | instskip(NEXT) | instid1(VALU_DEP_1)
	v_and_b32_e32 v8, 0x3ffffff0, v8
	v_max_i32_e32 v115, s21, v8
	s_branch .LBB4_265
.LBB4_263:                              ;   in Loop: Header=BB4_265 Depth=3
	s_or_b32 exec_lo, exec_lo, s40
.LBB4_264:                              ;   in Loop: Header=BB4_265 Depth=3
	s_delay_alu instid0(SALU_CYCLE_1) | instskip(SKIP_1) | instid1(SALU_CYCLE_1)
	s_or_b32 exec_lo, exec_lo, s29
	s_add_co_i32 s28, s28, 1
	s_cmp_eq_u32 s28, s18
	s_cbranch_scc1 .LBB4_444
.LBB4_265:                              ;   Parent Loop BB4_53 Depth=1
                                        ;     Parent Loop BB4_89 Depth=2
                                        ; =>    This Loop Header: Depth=3
                                        ;         Child Loop BB4_268 Depth 4
                                        ;           Child Loop BB4_276 Depth 5
                                        ;           Child Loop BB4_304 Depth 5
	;; [unrolled: 1-line block ×8, first 2 shown]
                                        ;         Child Loop BB4_393 Depth 4
                                        ;           Child Loop BB4_399 Depth 5
                                        ;           Child Loop BB4_427 Depth 5
	s_delay_alu instid0(VALU_DEP_1)
	v_dual_mov_b32 v9, 0 :: v_dual_mov_b32 v8, v115
	v_mov_b32_e32 v116, 0
	s_and_saveexec_b32 s29, s27
	s_cbranch_execz .LBB4_390
; %bb.266:                              ;   in Loop: Header=BB4_265 Depth=3
	v_dual_mov_b32 v116, 0 :: v_dual_mov_b32 v8, v115
	s_mov_b32 s42, 1
	s_mov_b32 s41, -1
	s_mov_b32 s40, 0
	s_branch .LBB4_268
.LBB4_267:                              ;   in Loop: Header=BB4_268 Depth=4
	s_wait_xcnt 0x0
	s_or_b32 exec_lo, exec_lo, s10
	v_dual_mov_b32 v9, s42 :: v_dual_add_nc_u32 v116, v8, v116
	s_xor_b32 s10, s41, -1
	s_mov_b32 s41, 0
	s_mov_b32 s42, 2
	s_delay_alu instid0(VALU_DEP_1) | instskip(SKIP_1) | instid1(SALU_CYCLE_1)
	v_cmp_ge_i32_e32 vcc_lo, v116, v114
	s_or_b32 s10, s10, vcc_lo
	s_and_b32 s10, exec_lo, s10
	s_delay_alu instid0(SALU_CYCLE_1) | instskip(NEXT) | instid1(SALU_CYCLE_1)
	s_or_b32 s40, s10, s40
	s_and_not1_b32 exec_lo, exec_lo, s40
	s_cbranch_execz .LBB4_389
.LBB4_268:                              ;   Parent Loop BB4_53 Depth=1
                                        ;     Parent Loop BB4_89 Depth=2
                                        ;       Parent Loop BB4_265 Depth=3
                                        ; =>      This Loop Header: Depth=4
                                        ;           Child Loop BB4_276 Depth 5
                                        ;           Child Loop BB4_304 Depth 5
	;; [unrolled: 1-line block ×8, first 2 shown]
	s_and_saveexec_b32 s10, s0
	s_cbranch_execz .LBB4_270
; %bb.269:                              ;   in Loop: Header=BB4_268 Depth=4
	ds_store_b64 v0, v[48:49]
	s_trap 2
.LBB4_270:                              ;   in Loop: Header=BB4_268 Depth=4
	s_or_b32 exec_lo, exec_lo, s10
	v_sub_nc_u32_e32 v9, v114, v116
	v_and_b32_e32 v34, 12, v80
	s_mov_b32 s43, exec_lo
	s_delay_alu instid0(VALU_DEP_2) | instskip(NEXT) | instid1(VALU_DEP_2)
	v_min_i32_e32 v8, v8, v9
	v_cmpx_ne_u32_e32 0, v34
	s_cbranch_execz .LBB4_296
; %bb.271:                              ;   in Loop: Header=BB4_268 Depth=4
	v_and_b32_e32 v34, 8, v80
	v_add_nc_u64_e32 v[98:99], 2, v[82:83]
	s_mov_b32 s44, exec_lo
	s_wait_loadcnt 0x0
	s_delay_alu instid0(VALU_DEP_2) | instskip(NEXT) | instid1(VALU_DEP_1)
	v_add_nc_u64_e32 v[100:101], v[26:27], v[34:35]
	v_cmpx_lt_u64_e64 v[100:101], v[98:99]
	s_cbranch_execz .LBB4_283
; %bb.272:                              ;   in Loop: Header=BB4_268 Depth=4
	v_and_b32_e32 v9, 64, v80
	s_mov_b32 s45, 0
	s_mov_b32 s57, 0
                                        ; implicit-def: $sgpr46
                                        ; implicit-def: $sgpr47
                                        ; implicit-def: $sgpr56
	s_delay_alu instid0(VALU_DEP_1)
	v_cmp_eq_u32_e32 vcc_lo, 0, v9
	s_branch .LBB4_276
.LBB4_273:                              ;   in Loop: Header=BB4_276 Depth=5
	s_wait_loadcnt_dscnt 0x0
	v_add_nc_u64_e32 v[100:101], v[26:27], v[34:35]
	s_or_b32 s60, s60, exec_lo
	s_delay_alu instid0(VALU_DEP_1)
	v_cmp_ge_u64_e64 s10, v[100:101], v[98:99]
	s_or_not1_b32 s59, s10, exec_lo
.LBB4_274:                              ;   in Loop: Header=BB4_276 Depth=5
	s_or_b32 exec_lo, exec_lo, s62
	s_delay_alu instid0(SALU_CYCLE_1)
	s_and_not1_b32 s10, s56, exec_lo
	s_and_b32 s56, s60, exec_lo
	s_and_not1_b32 s47, s47, exec_lo
	s_and_b32 s59, s59, exec_lo
	s_or_b32 s56, s10, s56
	s_or_b32 s47, s47, s59
.LBB4_275:                              ;   in Loop: Header=BB4_276 Depth=5
	s_or_b32 exec_lo, exec_lo, s58
	s_delay_alu instid0(SALU_CYCLE_1) | instskip(NEXT) | instid1(SALU_CYCLE_1)
	s_and_b32 s10, exec_lo, s47
	s_or_b32 s45, s10, s45
	s_and_not1_b32 s10, s46, exec_lo
	s_and_b32 s46, s56, exec_lo
	s_delay_alu instid0(SALU_CYCLE_1)
	s_or_b32 s46, s10, s46
	s_and_not1_b32 exec_lo, exec_lo, s45
	s_cbranch_execz .LBB4_280
.LBB4_276:                              ;   Parent Loop BB4_53 Depth=1
                                        ;     Parent Loop BB4_89 Depth=2
                                        ;       Parent Loop BB4_265 Depth=3
                                        ;         Parent Loop BB4_268 Depth=4
                                        ; =>        This Inner Loop Header: Depth=5
	s_sleep 1
	s_wait_loadcnt_dscnt 0x0
	flat_load_b64 v[26:27], v[18:19] scope:SCOPE_SYS
	s_or_b32 s56, s56, exec_lo
	s_or_b32 s47, s47, exec_lo
                                        ; implicit-def: $vgpr9
	s_wait_xcnt 0x0
	s_and_saveexec_b32 s58, vcc_lo
	s_cbranch_execz .LBB4_275
; %bb.277:                              ;   in Loop: Header=BB4_276 Depth=5
	s_cmp_lt_i32 s57, 0x270f
	s_mov_b32 s59, -1
	s_cselect_b32 s61, -1, 0
	s_cmp_gt_i32 s57, 0x270e
	s_cbranch_scc0 .LBB4_279
; %bb.278:                              ;   in Loop: Header=BB4_276 Depth=5
	s_trap 2
	ds_load_b64 v[100:101], v0
	s_and_not1_b32 s57, s61, exec_lo
	s_mov_b32 s60, 0
	s_wait_storecnt 0x0
	s_wait_loadcnt_dscnt 0x0
	flat_load_b32 v9, v[100:101] scope:SCOPE_SYS
	s_wait_loadcnt_dscnt 0x0
	global_inv scope:SCOPE_SYS
	v_cmp_eq_u32_e64 s10, 0, v9
	s_and_b32 s10, s10, exec_lo
	s_delay_alu instid0(SALU_CYCLE_1)
	s_or_b32 s61, s57, s10
	s_mov_b32 s57, 0
	s_and_saveexec_b32 s62, s61
	s_cbranch_execz .LBB4_274
	s_branch .LBB4_273
.LBB4_279:                              ;   in Loop: Header=BB4_276 Depth=5
	s_add_co_i32 s57, s57, 1
	s_mov_b32 s60, -1
                                        ; implicit-def: $vgpr9
	s_and_saveexec_b32 s62, s61
	s_cbranch_execz .LBB4_274
	s_branch .LBB4_273
.LBB4_280:                              ;   in Loop: Header=BB4_268 Depth=4
	s_or_b32 exec_lo, exec_lo, s45
	s_xor_b32 s10, s46, -1
	s_delay_alu instid0(SALU_CYCLE_1) | instskip(NEXT) | instid1(SALU_CYCLE_1)
	s_and_saveexec_b32 s45, s10
	s_xor_b32 s10, exec_lo, s45
	s_cbranch_execz .LBB4_282
; %bb.281:                              ;   in Loop: Header=BB4_268 Depth=4
	v_or_b32_e32 v80, 64, v80
	s_wait_storecnt 0x0
	s_wait_loadcnt_dscnt 0x0
	ds_store_b32 v0, v9
	s_trap 2
.LBB4_282:                              ;   in Loop: Header=BB4_268 Depth=4
	s_or_b32 exec_lo, exec_lo, s10
.LBB4_283:                              ;   in Loop: Header=BB4_268 Depth=4
	s_delay_alu instid0(SALU_CYCLE_1) | instskip(SKIP_4) | instid1(VALU_DEP_2)
	s_or_b32 exec_lo, exec_lo, s44
	v_and_b32_e32 v9, 0x108, v80
	v_and_b32_e32 v82, 7, v82
	s_mov_b32 s10, exec_lo
	;;#ASMSTART
	s_wakeup
	;;#ASMEND
	v_cmpx_ne_u32_e32 0x108, v9
	s_xor_b32 s10, exec_lo, s10
; %bb.284:                              ;   in Loop: Header=BB4_268 Depth=4
	v_mov_b32_e32 v83, v35
; %bb.285:                              ;   in Loop: Header=BB4_268 Depth=4
	s_and_not1_saveexec_b32 s10, s10
	s_cbranch_execz .LBB4_287
; %bb.286:                              ;   in Loop: Header=BB4_268 Depth=4
	v_mad_nc_u64_u32 v[100:101], v82, 24, v[4:5]
	v_dual_ashrrev_i32 v9, 31, v8 :: v_dual_mov_b32 v83, v35
	flat_store_b64 v[100:101], v[8:9] offset:8
.LBB4_287:                              ;   in Loop: Header=BB4_268 Depth=4
	s_wait_xcnt 0x0
	s_or_b32 exec_lo, exec_lo, s10
	v_and_b32_e32 v9, 0x100, v80
	s_mov_b32 s10, -1
	s_mov_b32 s44, exec_lo
                                        ; implicit-def: $vgpr100_vgpr101
	s_delay_alu instid0(VALU_DEP_1)
	v_cmpx_ne_u32_e32 0, v9
	s_cbranch_execz .LBB4_291
; %bb.288:                              ;   in Loop: Header=BB4_268 Depth=4
	v_mad_nc_u64_u32 v[102:103], v82, 24, v[4:5]
	s_mov_b32 s45, exec_lo
                                        ; implicit-def: $vgpr100_vgpr101
	s_delay_alu instid0(VALU_DEP_1)
	v_mad_u32 v103, v83, 24, v103
	flat_load_b32 v9, v[102:103]
	s_wait_loadcnt_dscnt 0x0
	v_cmp_ne_u32_e32 vcc_lo, 1, v9
	s_wait_xcnt 0x0
	v_cmpx_eq_u32_e32 1, v9
	s_cbranch_execz .LBB4_290
; %bb.289:                              ;   in Loop: Header=BB4_268 Depth=4
	flat_load_b32 v100, v[102:103] offset:4 scope:SCOPE_SYS
	s_wait_loadcnt_dscnt 0x0
	v_ashrrev_i32_e32 v101, 31, v100
.LBB4_290:                              ;   in Loop: Header=BB4_268 Depth=4
	s_wait_xcnt 0x0
	s_or_b32 exec_lo, exec_lo, s45
	s_delay_alu instid0(SALU_CYCLE_1)
	s_or_not1_b32 s10, vcc_lo, exec_lo
.LBB4_291:                              ;   in Loop: Header=BB4_268 Depth=4
	s_or_b32 exec_lo, exec_lo, s44
	s_and_saveexec_b32 s44, s10
; %bb.292:                              ;   in Loop: Header=BB4_268 Depth=4
	v_mul_u64_e32 v[100:101], v[82:83], v[20:21]
; %bb.293:                              ;   in Loop: Header=BB4_268 Depth=4
	s_or_b32 exec_lo, exec_lo, s44
	v_cmp_eq_u32_e32 vcc_lo, 0, v34
	s_delay_alu instid0(VALU_DEP_2) | instskip(SKIP_3) | instid1(VALU_DEP_1)
	v_add_nc_u64_e32 v[82:83], v[22:23], v[100:101]
	v_and_b32_e32 v34, 0x2000, v80
	s_mov_b32 s10, exec_lo
	v_cndmask_b32_e32 v9, 0xc8, v57, vcc_lo
	v_add_nc_u32_e32 v9, v0, v9
	ds_store_b64 v9, v[82:83] offset:584
	v_cmpx_ne_u32_e32 0, v34
	s_cbranch_execz .LBB4_295
; %bb.294:                              ;   in Loop: Header=BB4_268 Depth=4
	ds_load_b64 v[82:83], v0 offset:872
	s_wait_dscnt 0x0
	v_add_nc_u64_e32 v[82:83], 1, v[82:83]
	ds_store_b64 v0, v[82:83] offset:872
.LBB4_295:                              ;   in Loop: Header=BB4_268 Depth=4
	s_or_b32 exec_lo, exec_lo, s10
	v_mov_b64_e32 v[82:83], v[98:99]
.LBB4_296:                              ;   in Loop: Header=BB4_268 Depth=4
	s_or_b32 exec_lo, exec_lo, s43
	s_and_saveexec_b32 s10, s1
	s_cbranch_execz .LBB4_315
; %bb.297:                              ;   in Loop: Header=BB4_268 Depth=4
	s_and_saveexec_b32 s43, s2
	s_delay_alu instid0(SALU_CYCLE_1)
	s_xor_b32 s43, exec_lo, s43
	s_cbranch_execz .LBB4_312
; %bb.298:                              ;   in Loop: Header=BB4_268 Depth=4
	s_and_saveexec_b32 s44, s5
	s_cbranch_execz .LBB4_311
; %bb.299:                              ;   in Loop: Header=BB4_268 Depth=4
	s_mov_b32 s46, exec_lo
	s_mov_b32 s45, exec_lo
	v_mbcnt_lo_u32_b32 v9, s46, 0
	global_wb scope:SCOPE_DEV
	s_wait_storecnt 0x0
	s_wait_loadcnt_dscnt 0x0
	global_inv scope:SCOPE_DEV
	v_cmpx_eq_u32_e32 0, v9
	s_cbranch_execz .LBB4_301
; %bb.300:                              ;   in Loop: Header=BB4_268 Depth=4
	s_bcnt1_i32_b32 s46, s46
	s_delay_alu instid0(SALU_CYCLE_1)
	v_mov_b32_e32 v34, s46
	s_wait_loadcnt 0x0
	ds_add_u64 v0, v[34:35]
	s_trap 2
.LBB4_301:                              ;   in Loop: Header=BB4_268 Depth=4
	s_or_b32 exec_lo, exec_lo, s45
	s_trap 2
	ds_load_b64 v[98:99], v0
	s_wait_dscnt 0x0
	v_add_nc_u64_e32 v[10:11], v[10:11], v[36:37]
	s_mov_b32 s45, exec_lo
	s_delay_alu instid0(VALU_DEP_1)
	v_cmpx_lt_u64_e64 v[98:99], v[10:11]
	s_cbranch_execz .LBB4_310
; %bb.302:                              ;   in Loop: Header=BB4_268 Depth=4
	s_mov_b32 s46, 0
	s_mov_b32 s57, 0
                                        ; implicit-def: $sgpr47
                                        ; implicit-def: $sgpr56
	s_branch .LBB4_304
.LBB4_303:                              ;   in Loop: Header=BB4_304 Depth=5
	s_or_b32 exec_lo, exec_lo, s59
	s_delay_alu instid0(SALU_CYCLE_1) | instskip(NEXT) | instid1(SALU_CYCLE_1)
	s_and_b32 s58, exec_lo, s60
	s_or_b32 s46, s58, s46
	s_and_not1_b32 s47, s47, exec_lo
	s_and_b32 s58, s56, exec_lo
	s_delay_alu instid0(SALU_CYCLE_1)
	s_or_b32 s47, s47, s58
	s_and_not1_b32 exec_lo, exec_lo, s46
	s_cbranch_execz .LBB4_308
.LBB4_304:                              ;   Parent Loop BB4_53 Depth=1
                                        ;     Parent Loop BB4_89 Depth=2
                                        ;       Parent Loop BB4_265 Depth=3
                                        ;         Parent Loop BB4_268 Depth=4
                                        ; =>        This Inner Loop Header: Depth=5
	s_add_co_i32 s57, s57, 1
	s_delay_alu instid0(SALU_CYCLE_1) | instskip(SKIP_1) | instid1(SALU_CYCLE_1)
	s_cmp_lg_u32 s57, 0x2710
	s_cselect_b32 s58, -1, 0
	s_and_b32 vcc_lo, exec_lo, s58
	s_cbranch_vccz .LBB4_306
; %bb.305:                              ;   in Loop: Header=BB4_304 Depth=5
	s_mov_b32 s60, -1
	s_or_b32 s56, s56, exec_lo
	s_and_saveexec_b32 s59, s58
	s_cbranch_execz .LBB4_303
	s_branch .LBB4_307
.LBB4_306:                              ;   in Loop: Header=BB4_304 Depth=5
	s_trap 2
	ds_load_b64 v[98:99], v0
	s_and_not1_b32 s58, s58, exec_lo
	s_mov_b32 s57, 0
	s_wait_loadcnt_dscnt 0x0
	flat_load_b32 v9, v[98:99] scope:SCOPE_SYS
	s_wait_loadcnt_dscnt 0x0
	global_inv scope:SCOPE_SYS
	v_cmp_eq_u32_e32 vcc_lo, 0, v9
	s_and_b32 s59, vcc_lo, exec_lo
	s_delay_alu instid0(SALU_CYCLE_1)
	s_or_b32 s58, s58, s59
	s_mov_b32 s60, -1
	s_or_b32 s56, s56, exec_lo
	s_and_saveexec_b32 s59, s58
	s_cbranch_execz .LBB4_303
.LBB4_307:                              ;   in Loop: Header=BB4_304 Depth=5
	s_sleep 1
	s_trap 2
	ds_load_b64 v[98:99], v0
	s_wait_dscnt 0x0
	s_and_not1_b32 s56, s56, exec_lo
	v_cmp_ge_u64_e32 vcc_lo, v[98:99], v[10:11]
	s_or_not1_b32 s60, vcc_lo, exec_lo
	s_branch .LBB4_303
.LBB4_308:                              ;   in Loop: Header=BB4_268 Depth=4
	s_or_b32 exec_lo, exec_lo, s46
	s_and_saveexec_b32 s46, s47
	s_delay_alu instid0(SALU_CYCLE_1)
	s_xor_b32 s46, exec_lo, s46
	s_cbranch_execz .LBB4_310
; %bb.309:                              ;   in Loop: Header=BB4_268 Depth=4
	ds_store_b32 v0, v47
	s_trap 2
.LBB4_310:                              ;   in Loop: Header=BB4_268 Depth=4
	s_or_b32 exec_lo, exec_lo, s45
	;;#ASMSTART
	s_wakeup
	;;#ASMEND
.LBB4_311:                              ;   in Loop: Header=BB4_268 Depth=4
	s_or_b32 exec_lo, exec_lo, s44
.LBB4_312:                              ;   in Loop: Header=BB4_268 Depth=4
	s_and_not1_saveexec_b32 s43, s43
	s_cbranch_execz .LBB4_314
; %bb.313:                              ;   in Loop: Header=BB4_268 Depth=4
	global_wb scope:SCOPE_DEV
	s_wait_storecnt 0x0
	s_wait_loadcnt_dscnt 0x0
	global_inv scope:SCOPE_DEV
	s_barrier_signal -1
	s_barrier_wait -1
.LBB4_314:                              ;   in Loop: Header=BB4_268 Depth=4
	s_or_b32 exec_lo, exec_lo, s43
.LBB4_315:                              ;   in Loop: Header=BB4_268 Depth=4
	s_delay_alu instid0(SALU_CYCLE_1) | instskip(SKIP_3) | instid1(VALU_DEP_1)
	s_or_b32 exec_lo, exec_lo, s10
	s_trap 2
	ds_load_b32 v9, v0
	v_and_b32_e32 v34, 0x4000, v80
	v_cmp_ne_u32_e32 vcc_lo, 0, v34
	s_and_b32 s43, s22, vcc_lo
	s_delay_alu instid0(SALU_CYCLE_1)
	s_and_saveexec_b32 s10, s43
	s_cbranch_execz .LBB4_334
; %bb.316:                              ;   in Loop: Header=BB4_268 Depth=4
	s_and_saveexec_b32 s43, s2
	s_delay_alu instid0(SALU_CYCLE_1)
	s_xor_b32 s43, exec_lo, s43
	s_cbranch_execz .LBB4_331
; %bb.317:                              ;   in Loop: Header=BB4_268 Depth=4
	s_and_saveexec_b32 s44, s5
	s_cbranch_execz .LBB4_330
; %bb.318:                              ;   in Loop: Header=BB4_268 Depth=4
	s_mov_b32 s46, exec_lo
	s_mov_b32 s45, exec_lo
	v_mbcnt_lo_u32_b32 v34, s46, 0
	global_wb scope:SCOPE_DEV
	s_wait_storecnt 0x0
	s_wait_loadcnt_dscnt 0x0
	global_inv scope:SCOPE_DEV
	v_cmpx_eq_u32_e32 0, v34
	s_cbranch_execz .LBB4_320
; %bb.319:                              ;   in Loop: Header=BB4_268 Depth=4
	s_bcnt1_i32_b32 s46, s46
	s_delay_alu instid0(SALU_CYCLE_1)
	v_mov_b32_e32 v34, s46
	s_wait_loadcnt 0x0
	ds_add_u64 v0, v[34:35]
	s_trap 2
.LBB4_320:                              ;   in Loop: Header=BB4_268 Depth=4
	s_or_b32 exec_lo, exec_lo, s45
	s_trap 2
	ds_load_b64 v[98:99], v0
	s_wait_dscnt 0x0
	v_add_nc_u64_e32 v[10:11], v[10:11], v[36:37]
	s_mov_b32 s45, exec_lo
	s_delay_alu instid0(VALU_DEP_1)
	v_cmpx_lt_u64_e64 v[98:99], v[10:11]
	s_cbranch_execz .LBB4_329
; %bb.321:                              ;   in Loop: Header=BB4_268 Depth=4
	s_mov_b32 s46, 0
	s_mov_b32 s57, 0
                                        ; implicit-def: $sgpr47
                                        ; implicit-def: $sgpr56
	s_branch .LBB4_323
.LBB4_322:                              ;   in Loop: Header=BB4_323 Depth=5
	s_or_b32 exec_lo, exec_lo, s59
	s_delay_alu instid0(SALU_CYCLE_1) | instskip(NEXT) | instid1(SALU_CYCLE_1)
	s_and_b32 s58, exec_lo, s60
	s_or_b32 s46, s58, s46
	s_and_not1_b32 s47, s47, exec_lo
	s_and_b32 s58, s56, exec_lo
	s_delay_alu instid0(SALU_CYCLE_1)
	s_or_b32 s47, s47, s58
	s_and_not1_b32 exec_lo, exec_lo, s46
	s_cbranch_execz .LBB4_327
.LBB4_323:                              ;   Parent Loop BB4_53 Depth=1
                                        ;     Parent Loop BB4_89 Depth=2
                                        ;       Parent Loop BB4_265 Depth=3
                                        ;         Parent Loop BB4_268 Depth=4
                                        ; =>        This Inner Loop Header: Depth=5
	s_add_co_i32 s57, s57, 1
	s_delay_alu instid0(SALU_CYCLE_1) | instskip(SKIP_1) | instid1(SALU_CYCLE_1)
	s_cmp_lg_u32 s57, 0x2710
	s_cselect_b32 s58, -1, 0
	s_and_b32 vcc_lo, exec_lo, s58
	s_cbranch_vccz .LBB4_325
; %bb.324:                              ;   in Loop: Header=BB4_323 Depth=5
	s_mov_b32 s60, -1
	s_or_b32 s56, s56, exec_lo
	s_and_saveexec_b32 s59, s58
	s_cbranch_execz .LBB4_322
	s_branch .LBB4_326
.LBB4_325:                              ;   in Loop: Header=BB4_323 Depth=5
	s_trap 2
	ds_load_b64 v[98:99], v0
	s_and_not1_b32 s58, s58, exec_lo
	s_mov_b32 s57, 0
	s_wait_loadcnt_dscnt 0x0
	flat_load_b32 v34, v[98:99] scope:SCOPE_SYS
	s_wait_loadcnt_dscnt 0x0
	global_inv scope:SCOPE_SYS
	v_cmp_eq_u32_e32 vcc_lo, 0, v34
	s_and_b32 s59, vcc_lo, exec_lo
	s_delay_alu instid0(SALU_CYCLE_1)
	s_or_b32 s58, s58, s59
	s_mov_b32 s60, -1
	s_or_b32 s56, s56, exec_lo
	s_and_saveexec_b32 s59, s58
	s_cbranch_execz .LBB4_322
.LBB4_326:                              ;   in Loop: Header=BB4_323 Depth=5
	s_sleep 1
	s_trap 2
	ds_load_b64 v[98:99], v0
	s_wait_dscnt 0x0
	s_and_not1_b32 s56, s56, exec_lo
	v_cmp_ge_u64_e32 vcc_lo, v[98:99], v[10:11]
	s_or_not1_b32 s60, vcc_lo, exec_lo
	s_branch .LBB4_322
.LBB4_327:                              ;   in Loop: Header=BB4_268 Depth=4
	s_or_b32 exec_lo, exec_lo, s46
	s_and_saveexec_b32 s46, s47
	s_delay_alu instid0(SALU_CYCLE_1)
	s_xor_b32 s46, exec_lo, s46
	s_cbranch_execz .LBB4_329
; %bb.328:                              ;   in Loop: Header=BB4_268 Depth=4
	ds_store_b32 v0, v47
	s_trap 2
.LBB4_329:                              ;   in Loop: Header=BB4_268 Depth=4
	s_or_b32 exec_lo, exec_lo, s45
	;;#ASMSTART
	s_wakeup
	;;#ASMEND
.LBB4_330:                              ;   in Loop: Header=BB4_268 Depth=4
	s_or_b32 exec_lo, exec_lo, s44
.LBB4_331:                              ;   in Loop: Header=BB4_268 Depth=4
	s_and_not1_saveexec_b32 s43, s43
	s_cbranch_execz .LBB4_333
; %bb.332:                              ;   in Loop: Header=BB4_268 Depth=4
	global_wb scope:SCOPE_DEV
	s_wait_storecnt 0x0
	s_wait_loadcnt_dscnt 0x0
	global_inv scope:SCOPE_DEV
	s_barrier_signal -1
	s_barrier_wait -1
.LBB4_333:                              ;   in Loop: Header=BB4_268 Depth=4
	s_or_b32 exec_lo, exec_lo, s43
.LBB4_334:                              ;   in Loop: Header=BB4_268 Depth=4
	s_delay_alu instid0(SALU_CYCLE_1)
	s_or_b32 exec_lo, exec_lo, s10
	s_trap 2
	ds_load_b64 v[98:99], v0
	s_wait_dscnt 0x0
	v_cmp_eq_u64_e32 vcc_lo, 0, v[98:99]
	s_cbranch_vccnz .LBB4_342
; %bb.335:                              ;   in Loop: Header=BB4_268 Depth=4
	s_trap 2
	ds_load_b64 v[100:101], v0
	s_wait_dscnt 0x0
	v_cmp_eq_u64_e32 vcc_lo, 0, v[100:101]
	s_cbranch_vccnz .LBB4_342
; %bb.336:                              ;   in Loop: Header=BB4_268 Depth=4
	s_mov_b32 s10, -1
	s_and_saveexec_b32 s43, s7
	s_cbranch_execz .LBB4_338
; %bb.337:                              ;   in Loop: Header=BB4_268 Depth=4
	ds_load_b32 v34, v0 offset:720
	s_wait_dscnt 0x0
	v_and_b32_e32 v34, 15, v34
	s_delay_alu instid0(VALU_DEP_1)
	v_cmp_eq_u32_e32 vcc_lo, 0, v34
	s_or_not1_b32 s10, vcc_lo, exec_lo
.LBB4_338:                              ;   in Loop: Header=BB4_268 Depth=4
	s_or_b32 exec_lo, exec_lo, s43
	s_and_saveexec_b32 s43, s7
	s_cbranch_execz .LBB4_340
; %bb.339:                              ;   in Loop: Header=BB4_268 Depth=4
	ds_load_b32 v34, v0 offset:784
	s_wait_dscnt 0x0
	v_and_b32_e32 v34, 15, v34
	s_delay_alu instid0(VALU_DEP_1) | instskip(SKIP_3) | instid1(SALU_CYCLE_1)
	v_cmp_eq_u32_e32 vcc_lo, 0, v34
	s_and_b32 s44, s10, vcc_lo
	s_and_not1_b32 s10, s10, exec_lo
	s_and_b32 s44, s44, exec_lo
	s_or_b32 s10, s10, s44
.LBB4_340:                              ;   in Loop: Header=BB4_268 Depth=4
	s_or_b32 exec_lo, exec_lo, s43
	v_cmp_eq_u32_e32 vcc_lo, 0, v9
	s_xor_b32 s10, s10, -1
	v_mov_b32_e32 v102, v66
	v_cndmask_b32_e64 v34, 0, 1, s10
	s_mov_b32 s44, -1
	v_dual_cndmask_b32 v9, 0, v8, vcc_lo :: v_dual_mov_b32 v113, v0
	s_delay_alu instid0(VALU_DEP_2) | instskip(NEXT) | instid1(VALU_DEP_2)
	v_cmp_ne_u32_e32 vcc_lo, 0, v34
	v_dual_mov_b32 v34, 0 :: v_dual_mov_b32 v112, v9
	s_cbranch_vccz .LBB4_343
; %bb.341:                              ;   in Loop: Header=BB4_268 Depth=4
	s_and_saveexec_b32 s10, s44
	s_cbranch_execnz .LBB4_356
	s_branch .LBB4_364
.LBB4_342:                              ;   in Loop: Header=BB4_268 Depth=4
	s_mov_b32 s10, 0
	s_and_saveexec_b32 s43, s1
	s_cbranch_execnz .LBB4_365
	s_branch .LBB4_383
.LBB4_343:                              ;   in Loop: Header=BB4_268 Depth=4
	v_ashrrev_i32_e32 v34, 31, v9
	s_mov_b32 s10, exec_lo
	s_delay_alu instid0(VALU_DEP_1) | instskip(NEXT) | instid1(VALU_DEP_1)
	v_lshrrev_b32_e32 v34, 21, v34
	v_add_nc_u32_e32 v34, v9, v34
	s_delay_alu instid0(VALU_DEP_1) | instskip(NEXT) | instid1(VALU_DEP_1)
	v_ashrrev_i32_e32 v34, 11, v34
	v_sub_nc_u32_e32 v118, v34, v66
	s_delay_alu instid0(VALU_DEP_1)
	v_cmpx_lt_i32_e32 0, v118
	s_cbranch_execz .LBB4_347
; %bb.344:                              ;   in Loop: Header=BB4_268 Depth=4
	v_mov_b64_e32 v[102:103], v[100:101]
	v_mov_b64_e32 v[112:113], v[98:99]
	s_mov_b32 s43, 0
.LBB4_345:                              ;   Parent Loop BB4_53 Depth=1
                                        ;     Parent Loop BB4_89 Depth=2
                                        ;       Parent Loop BB4_265 Depth=3
                                        ;         Parent Loop BB4_268 Depth=4
                                        ; =>        This Inner Loop Header: Depth=5
	s_delay_alu instid0(VALU_DEP_1)
	v_add_nc_u64_e32 v[44:45], v[68:69], v[112:113]
	v_sub_nc_u32_e32 v118, v118, v36
	v_add_nc_u64_e32 v[112:113], v[112:113], v[50:51]
	s_clause 0x3
	global_load_b128 v[40:43], v[44:45], off th:TH_LOAD_NT
	global_load_b128 v[58:61], v[44:45], off offset:512 th:TH_LOAD_NT
	global_load_b128 v[72:75], v[44:45], off offset:1024 th:TH_LOAD_NT
	;; [unrolled: 1-line block ×3, first 2 shown]
	s_wait_xcnt 0x0
	v_add_nc_u64_e32 v[44:45], v[68:69], v[102:103]
	v_cmp_gt_i32_e32 vcc_lo, 1, v118
	v_add_nc_u64_e32 v[102:103], v[102:103], v[50:51]
	s_wait_loadcnt 0x3
	global_store_b128 v[44:45], v[40:43], off th:TH_STORE_NT
	s_wait_loadcnt 0x2
	global_store_b128 v[44:45], v[58:61], off offset:512 th:TH_STORE_NT
	s_wait_loadcnt 0x1
	global_store_b128 v[44:45], v[72:75], off offset:1024 th:TH_STORE_NT
	s_wait_loadcnt 0x0
	global_store_b128 v[44:45], v[76:79], off offset:1536 th:TH_STORE_NT
	s_or_b32 s43, vcc_lo, s43
	s_wait_xcnt 0x0
	s_and_not1_b32 exec_lo, exec_lo, s43
	s_cbranch_execnz .LBB4_345
; %bb.346:                              ;   in Loop: Header=BB4_268 Depth=4
	s_or_b32 exec_lo, exec_lo, s43
.LBB4_347:                              ;   in Loop: Header=BB4_268 Depth=4
	s_delay_alu instid0(SALU_CYCLE_1) | instskip(SKIP_3) | instid1(VALU_DEP_1)
	s_or_b32 exec_lo, exec_lo, s10
	v_dual_mov_b32 v34, 0 :: v_dual_lshlrev_b32 v117, 11, v34
	s_mov_b32 s44, 0
	s_mov_b32 s43, exec_lo
                                        ; implicit-def: $vgpr112
                                        ; implicit-def: $vgpr113
                                        ; implicit-def: $vgpr102
	v_cmpx_ne_u32_e64 v9, v117
	s_cbranch_execz .LBB4_355
; %bb.348:                              ;   in Loop: Header=BB4_268 Depth=4
	v_dual_lshlrev_b32 v34, 5, v118 :: v_dual_sub_nc_u32 v103, v9, v117
	s_mov_b32 s44, exec_lo
	s_delay_alu instid0(VALU_DEP_1) | instskip(NEXT) | instid1(VALU_DEP_1)
	v_dual_sub_nc_u32 v34, v56, v34 :: v_dual_ashrrev_i32 v112, 31, v103
	v_dual_ashrrev_i32 v102, 31, v34 :: v_dual_lshrrev_b32 v112, 23, v112
	s_delay_alu instid0(VALU_DEP_1) | instskip(NEXT) | instid1(VALU_DEP_1)
	v_dual_lshrrev_b32 v102, 27, v102 :: v_dual_add_nc_u32 v112, v103, v112
	v_add_nc_u32_e32 v102, v34, v102
	s_delay_alu instid0(VALU_DEP_2) | instskip(SKIP_1) | instid1(VALU_DEP_3)
	v_and_b32_e32 v118, 0xfffffe00, v112
	v_ashrrev_i32_e32 v112, 9, v112
	v_and_b32_e32 v113, 0xffffffe0, v102
	s_delay_alu instid0(VALU_DEP_1) | instskip(SKIP_1) | instid1(VALU_DEP_2)
	v_dual_sub_nc_u32 v40, v103, v118 :: v_dual_sub_nc_u32 v119, v34, v113
	v_ashrrev_i32_e32 v113, 5, v102
	v_cmp_lt_i32_e32 vcc_lo, 15, v40
	s_delay_alu instid0(VALU_DEP_3) | instskip(SKIP_1) | instid1(VALU_DEP_2)
	v_lshlrev_b32_e32 v34, 4, v119
	v_add_co_ci_u32_e64 v112, null, 0, v112, vcc_lo
	v_lshl_add_u32 v102, v113, 9, v34
	s_delay_alu instid0(VALU_DEP_1) | instskip(NEXT) | instid1(VALU_DEP_1)
	v_dual_sub_nc_u32 v41, v112, v113 :: v_dual_sub_nc_u32 v34, v103, v102
	v_cmpx_lt_i32_e32 15, v34
	s_cbranch_execz .LBB4_352
; %bb.349:                              ;   in Loop: Header=BB4_268 Depth=4
	v_add_nc_u32_e32 v102, v102, v117
	s_mov_b32 s45, 0
	s_delay_alu instid0(VALU_DEP_1)
	v_ashrrev_i32_e32 v103, 31, v102
.LBB4_350:                              ;   Parent Loop BB4_53 Depth=1
                                        ;     Parent Loop BB4_89 Depth=2
                                        ;       Parent Loop BB4_265 Depth=3
                                        ;         Parent Loop BB4_268 Depth=4
                                        ; =>        This Inner Loop Header: Depth=5
	s_delay_alu instid0(VALU_DEP_1) | instskip(SKIP_2) | instid1(VALU_DEP_2)
	v_add_nc_u64_e32 v[112:113], v[98:99], v[102:103]
	v_sub_nc_u32_e32 v34, v34, v52
	v_sub_nc_u32_e32 v41, v41, v36
	v_cmp_gt_i32_e64 s10, 16, v34
	global_load_b128 v[42:45], v[112:113], off th:TH_LOAD_NT
	s_wait_xcnt 0x0
	v_add_nc_u64_e32 v[112:113], v[100:101], v[102:103]
	v_add_nc_u64_e32 v[102:103], v[102:103], v[52:53]
	s_or_b32 s45, s10, s45
	s_wait_loadcnt 0x0
	global_store_b128 v[112:113], v[42:45], off th:TH_STORE_NT
	s_wait_xcnt 0x0
	s_and_not1_b32 exec_lo, exec_lo, s45
	s_cbranch_execnz .LBB4_350
; %bb.351:                              ;   in Loop: Header=BB4_268 Depth=4
	s_or_b32 exec_lo, exec_lo, s45
.LBB4_352:                              ;   in Loop: Header=BB4_268 Depth=4
	s_delay_alu instid0(SALU_CYCLE_1) | instskip(SKIP_3) | instid1(VALU_DEP_1)
	s_or_b32 exec_lo, exec_lo, s44
	v_dual_mov_b32 v34, 0 :: v_dual_bitop2_b32 v103, 15, v9 bitop3:0x40
	s_mov_b32 s44, 0
	s_mov_b32 s45, exec_lo
                                        ; implicit-def: $vgpr113
                                        ; implicit-def: $vgpr102
	v_cndmask_b32_e32 v112, v40, v103, vcc_lo
	s_delay_alu instid0(VALU_DEP_1)
	v_cmpx_ne_u32_e32 0, v112
	s_cbranch_execz .LBB4_354
; %bb.353:                              ;   in Loop: Header=BB4_268 Depth=4
	v_cmp_lt_i32_e64 s10, 0, v41
	s_mov_b32 s44, exec_lo
	v_dual_sub_nc_u32 v102, v40, v103 :: v_dual_cndmask_b32 v34, 0, v36, s10
	s_delay_alu instid0(VALU_DEP_1) | instskip(NEXT) | instid1(VALU_DEP_1)
	v_dual_cndmask_b32 v102, 0, v102, vcc_lo :: v_dual_sub_nc_u32 v34, v34, v41
	v_lshl_add_u32 v113, v34, 5, v119
	s_delay_alu instid0(VALU_DEP_1) | instskip(NEXT) | instid1(VALU_DEP_1)
	v_ashrrev_i32_e32 v34, 31, v113
	v_lshrrev_b32_e32 v34, 27, v34
	s_delay_alu instid0(VALU_DEP_1) | instskip(SKIP_1) | instid1(VALU_DEP_2)
	v_add_nc_u32_e32 v103, v113, v34
	v_add3_u32 v34, v118, v117, v102
	v_ashrrev_i32_e32 v102, 5, v103
.LBB4_354:                              ;   in Loop: Header=BB4_268 Depth=4
	s_or_b32 exec_lo, exec_lo, s45
	s_delay_alu instid0(SALU_CYCLE_1)
	s_and_b32 s44, s44, exec_lo
.LBB4_355:                              ;   in Loop: Header=BB4_268 Depth=4
	s_or_b32 exec_lo, exec_lo, s43
	s_and_saveexec_b32 s10, s44
	s_cbranch_execz .LBB4_364
.LBB4_356:                              ;   in Loop: Header=BB4_268 Depth=4
	v_ashrrev_i32_e32 v103, 31, v112
	s_mov_b32 s43, exec_lo
	s_delay_alu instid0(VALU_DEP_1) | instskip(NEXT) | instid1(VALU_DEP_1)
	v_lshrrev_b32_e32 v103, 23, v103
	v_add_nc_u32_e32 v103, v112, v103
	s_delay_alu instid0(VALU_DEP_1) | instskip(NEXT) | instid1(VALU_DEP_1)
	v_dual_ashrrev_i32 v119, 9, v103 :: v_dual_ashrrev_i32 v103, 31, v113
	v_dual_sub_nc_u32 v117, v119, v102 :: v_dual_lshrrev_b32 v118, 27, v103
	s_delay_alu instid0(VALU_DEP_1)
	v_cmpx_lt_i32_e32 0, v117
	s_cbranch_execz .LBB4_360
; %bb.357:                              ;   in Loop: Header=BB4_268 Depth=4
	s_delay_alu instid0(VALU_DEP_2) | instskip(SKIP_2) | instid1(VALU_DEP_2)
	v_add_nc_u32_e32 v103, v113, v118
	s_mov_b32 s44, 0
	v_lshlrev_b32_e32 v102, 9, v102
	v_and_b32_e32 v103, 0xffffffe0, v103
	s_delay_alu instid0(VALU_DEP_1) | instskip(NEXT) | instid1(VALU_DEP_1)
	v_sub_nc_u32_e32 v103, v113, v103
	v_add3_u32 v102, v34, v103, v102
	s_delay_alu instid0(VALU_DEP_1)
	v_ashrrev_i32_e32 v103, 31, v102
.LBB4_358:                              ;   Parent Loop BB4_53 Depth=1
                                        ;     Parent Loop BB4_89 Depth=2
                                        ;       Parent Loop BB4_265 Depth=3
                                        ;         Parent Loop BB4_268 Depth=4
                                        ; =>        This Inner Loop Header: Depth=5
	s_delay_alu instid0(VALU_DEP_1)
	v_add_nc_u64_e32 v[40:41], v[102:103], v[98:99]
	v_sub_nc_u32_e32 v117, v117, v36
	v_add_nc_u64_e32 v[98:99], v[98:99], v[52:53]
	s_clause 0xf
	flat_load_u8 v42, v[40:41] th:TH_LOAD_NT
	flat_load_u8 v43, v[40:41] offset:32 th:TH_LOAD_NT
	flat_load_u8 v44, v[40:41] offset:64 th:TH_LOAD_NT
	;; [unrolled: 1-line block ×15, first 2 shown]
	s_wait_xcnt 0x0
	v_add_nc_u64_e32 v[40:41], v[102:103], v[100:101]
	v_add_nc_u64_e32 v[100:101], v[100:101], v[52:53]
	v_cmp_gt_i32_e32 vcc_lo, 1, v117
	s_wait_loadcnt_dscnt 0xf0f
	flat_store_b8 v[40:41], v42 th:TH_STORE_NT
	s_wait_loadcnt_dscnt 0xe0f
	flat_store_b8 v[40:41], v43 offset:32 th:TH_STORE_NT
	s_wait_loadcnt_dscnt 0xd0f
	flat_store_b8 v[40:41], v44 offset:64 th:TH_STORE_NT
	s_wait_loadcnt_dscnt 0xc0f
	flat_store_b8 v[40:41], v45 offset:96 th:TH_STORE_NT
	s_wait_loadcnt_dscnt 0xb0f
	flat_store_b8 v[40:41], v58 offset:128 th:TH_STORE_NT
	s_wait_loadcnt_dscnt 0xa0f
	flat_store_b8 v[40:41], v59 offset:160 th:TH_STORE_NT
	s_wait_loadcnt_dscnt 0x90f
	flat_store_b8 v[40:41], v60 offset:192 th:TH_STORE_NT
	s_wait_loadcnt_dscnt 0x80f
	flat_store_b8 v[40:41], v61 offset:224 th:TH_STORE_NT
	s_wait_loadcnt_dscnt 0x70f
	flat_store_b8 v[40:41], v62 offset:256 th:TH_STORE_NT
	s_wait_loadcnt_dscnt 0x60f
	flat_store_b8 v[40:41], v63 offset:288 th:TH_STORE_NT
	s_wait_loadcnt_dscnt 0x50f
	flat_store_b8 v[40:41], v72 offset:320 th:TH_STORE_NT
	s_wait_loadcnt_dscnt 0x40f
	flat_store_b8 v[40:41], v73 offset:352 th:TH_STORE_NT
	s_wait_loadcnt_dscnt 0x30f
	flat_store_b8 v[40:41], v74 offset:384 th:TH_STORE_NT
	s_wait_loadcnt_dscnt 0x20f
	flat_store_b8 v[40:41], v75 offset:416 th:TH_STORE_NT
	s_wait_loadcnt_dscnt 0x10f
	flat_store_b8 v[40:41], v76 offset:448 th:TH_STORE_NT
	s_wait_loadcnt_dscnt 0xf
	flat_store_b8 v[40:41], v77 offset:480 th:TH_STORE_NT
	s_or_b32 s44, vcc_lo, s44
	s_wait_xcnt 0x0
	s_and_not1_b32 exec_lo, exec_lo, s44
	s_cbranch_execnz .LBB4_358
; %bb.359:                              ;   in Loop: Header=BB4_268 Depth=4
	s_or_b32 exec_lo, exec_lo, s44
.LBB4_360:                              ;   in Loop: Header=BB4_268 Depth=4
	s_delay_alu instid0(SALU_CYCLE_1) | instskip(SKIP_1) | instid1(VALU_DEP_1)
	s_or_b32 exec_lo, exec_lo, s43
	v_lshlrev_b32_e32 v98, 9, v119
	v_cmp_ne_u32_e32 vcc_lo, v112, v98
	s_and_b32 exec_lo, exec_lo, vcc_lo
	s_cbranch_execz .LBB4_364
; %bb.361:                              ;   in Loop: Header=BB4_268 Depth=4
	v_dual_add_nc_u32 v99, v113, v118 :: v_dual_lshlrev_b32 v100, 5, v117
	s_delay_alu instid0(VALU_DEP_1) | instskip(NEXT) | instid1(VALU_DEP_1)
	v_and_b32_e32 v99, 0xffffffe0, v99
	v_sub_nc_u32_e32 v99, v113, v99
	s_delay_alu instid0(VALU_DEP_1) | instskip(NEXT) | instid1(VALU_DEP_1)
	v_sub_nc_u32_e32 v99, v99, v100
	v_add_nc_u32_e32 v100, v98, v99
	s_delay_alu instid0(VALU_DEP_1) | instskip(NEXT) | instid1(VALU_DEP_1)
	v_sub_nc_u32_e32 v102, v112, v100
	v_cmp_lt_i32_e32 vcc_lo, 0, v102
	s_and_b32 exec_lo, exec_lo, vcc_lo
	s_cbranch_execz .LBB4_364
; %bb.362:                              ;   in Loop: Header=BB4_268 Depth=4
	s_trap 2
	ds_load_b64 v[98:99], v0
	v_add_nc_u32_e32 v100, v100, v34
	s_mov_b32 s43, 0
	s_delay_alu instid0(VALU_DEP_1)
	v_ashrrev_i32_e32 v101, 31, v100
.LBB4_363:                              ;   Parent Loop BB4_53 Depth=1
                                        ;     Parent Loop BB4_89 Depth=2
                                        ;       Parent Loop BB4_265 Depth=3
                                        ;         Parent Loop BB4_268 Depth=4
                                        ; =>        This Inner Loop Header: Depth=5
	s_wait_dscnt 0x0
	s_delay_alu instid0(VALU_DEP_1) | instskip(SKIP_2) | instid1(VALU_DEP_2)
	v_add_nc_u64_e32 v[112:113], v[98:99], v[100:101]
	v_sub_nc_u32_e32 v102, v102, v38
	v_add_nc_u64_e32 v[100:101], v[100:101], v[38:39]
	v_cmp_gt_i32_e32 vcc_lo, 1, v102
	flat_load_u8 v34, v[112:113] th:TH_LOAD_NT
	s_or_b32 s43, vcc_lo, s43
	s_wait_loadcnt_dscnt 0x0
	flat_store_b8 v[112:113], v34 th:TH_STORE_NT
	s_wait_xcnt 0x0
	s_and_not1_b32 exec_lo, exec_lo, s43
	s_cbranch_execnz .LBB4_363
.LBB4_364:                              ;   in Loop: Header=BB4_268 Depth=4
	s_or_b32 exec_lo, exec_lo, s10
	v_cmp_lt_i32_e64 s10, 0, v9
	s_and_saveexec_b32 s43, s1
	s_cbranch_execz .LBB4_383
.LBB4_365:                              ;   in Loop: Header=BB4_268 Depth=4
	s_and_saveexec_b32 s44, s2
	s_delay_alu instid0(SALU_CYCLE_1)
	s_xor_b32 s44, exec_lo, s44
	s_cbranch_execz .LBB4_380
; %bb.366:                              ;   in Loop: Header=BB4_268 Depth=4
	s_and_saveexec_b32 s45, s5
	s_cbranch_execz .LBB4_379
; %bb.367:                              ;   in Loop: Header=BB4_268 Depth=4
	s_mov_b32 s47, exec_lo
	s_mov_b32 s46, exec_lo
	v_mbcnt_lo_u32_b32 v9, s47, 0
	global_wb scope:SCOPE_DEV
	s_wait_storecnt 0x0
	s_wait_loadcnt_dscnt 0x0
	global_inv scope:SCOPE_DEV
	v_cmpx_eq_u32_e32 0, v9
	s_cbranch_execz .LBB4_369
; %bb.368:                              ;   in Loop: Header=BB4_268 Depth=4
	s_bcnt1_i32_b32 s47, s47
	s_delay_alu instid0(SALU_CYCLE_1)
	v_mov_b32_e32 v34, s47
	s_wait_loadcnt 0x0
	ds_add_u64 v0, v[34:35]
	s_trap 2
.LBB4_369:                              ;   in Loop: Header=BB4_268 Depth=4
	s_or_b32 exec_lo, exec_lo, s46
	s_trap 2
	ds_load_b64 v[98:99], v0
	s_wait_dscnt 0x0
	v_add_nc_u64_e32 v[10:11], v[10:11], v[36:37]
	s_mov_b32 s46, exec_lo
	s_delay_alu instid0(VALU_DEP_1)
	v_cmpx_lt_u64_e64 v[98:99], v[10:11]
	s_cbranch_execz .LBB4_378
; %bb.370:                              ;   in Loop: Header=BB4_268 Depth=4
	s_mov_b32 s47, 0
	s_mov_b32 s58, 0
                                        ; implicit-def: $sgpr56
                                        ; implicit-def: $sgpr57
	s_branch .LBB4_372
.LBB4_371:                              ;   in Loop: Header=BB4_372 Depth=5
	s_or_b32 exec_lo, exec_lo, s60
	s_delay_alu instid0(SALU_CYCLE_1) | instskip(NEXT) | instid1(SALU_CYCLE_1)
	s_and_b32 s59, exec_lo, s61
	s_or_b32 s47, s59, s47
	s_and_not1_b32 s56, s56, exec_lo
	s_and_b32 s59, s57, exec_lo
	s_delay_alu instid0(SALU_CYCLE_1)
	s_or_b32 s56, s56, s59
	s_and_not1_b32 exec_lo, exec_lo, s47
	s_cbranch_execz .LBB4_376
.LBB4_372:                              ;   Parent Loop BB4_53 Depth=1
                                        ;     Parent Loop BB4_89 Depth=2
                                        ;       Parent Loop BB4_265 Depth=3
                                        ;         Parent Loop BB4_268 Depth=4
                                        ; =>        This Inner Loop Header: Depth=5
	s_add_co_i32 s58, s58, 1
	s_delay_alu instid0(SALU_CYCLE_1) | instskip(SKIP_1) | instid1(SALU_CYCLE_1)
	s_cmp_lg_u32 s58, 0x2710
	s_cselect_b32 s59, -1, 0
	s_and_b32 vcc_lo, exec_lo, s59
	s_cbranch_vccz .LBB4_374
; %bb.373:                              ;   in Loop: Header=BB4_372 Depth=5
	s_mov_b32 s61, -1
	s_or_b32 s57, s57, exec_lo
	s_and_saveexec_b32 s60, s59
	s_cbranch_execz .LBB4_371
	s_branch .LBB4_375
.LBB4_374:                              ;   in Loop: Header=BB4_372 Depth=5
	s_trap 2
	ds_load_b64 v[98:99], v0
	s_and_not1_b32 s59, s59, exec_lo
	s_mov_b32 s58, 0
	s_wait_loadcnt_dscnt 0x0
	flat_load_b32 v9, v[98:99] scope:SCOPE_SYS
	s_wait_loadcnt_dscnt 0x0
	global_inv scope:SCOPE_SYS
	v_cmp_eq_u32_e32 vcc_lo, 0, v9
	s_and_b32 s60, vcc_lo, exec_lo
	s_delay_alu instid0(SALU_CYCLE_1)
	s_or_b32 s59, s59, s60
	s_mov_b32 s61, -1
	s_or_b32 s57, s57, exec_lo
	s_and_saveexec_b32 s60, s59
	s_cbranch_execz .LBB4_371
.LBB4_375:                              ;   in Loop: Header=BB4_372 Depth=5
	s_sleep 1
	s_trap 2
	ds_load_b64 v[98:99], v0
	s_wait_dscnt 0x0
	s_and_not1_b32 s57, s57, exec_lo
	v_cmp_ge_u64_e32 vcc_lo, v[98:99], v[10:11]
	s_or_not1_b32 s61, vcc_lo, exec_lo
	s_branch .LBB4_371
.LBB4_376:                              ;   in Loop: Header=BB4_268 Depth=4
	s_or_b32 exec_lo, exec_lo, s47
	s_and_saveexec_b32 s47, s56
	s_delay_alu instid0(SALU_CYCLE_1)
	s_xor_b32 s47, exec_lo, s47
	s_cbranch_execz .LBB4_378
; %bb.377:                              ;   in Loop: Header=BB4_268 Depth=4
	ds_store_b32 v0, v47
	s_trap 2
.LBB4_378:                              ;   in Loop: Header=BB4_268 Depth=4
	s_or_b32 exec_lo, exec_lo, s46
	;;#ASMSTART
	s_wakeup
	;;#ASMEND
.LBB4_379:                              ;   in Loop: Header=BB4_268 Depth=4
	s_or_b32 exec_lo, exec_lo, s45
.LBB4_380:                              ;   in Loop: Header=BB4_268 Depth=4
	s_and_not1_saveexec_b32 s44, s44
	s_cbranch_execz .LBB4_382
; %bb.381:                              ;   in Loop: Header=BB4_268 Depth=4
	global_wb scope:SCOPE_DEV
	s_wait_storecnt 0x0
	s_wait_loadcnt_dscnt 0x0
	global_inv scope:SCOPE_DEV
	s_barrier_signal -1
	s_barrier_wait -1
.LBB4_382:                              ;   in Loop: Header=BB4_268 Depth=4
	s_or_b32 exec_lo, exec_lo, s44
.LBB4_383:                              ;   in Loop: Header=BB4_268 Depth=4
	s_delay_alu instid0(SALU_CYCLE_1) | instskip(SKIP_1) | instid1(VALU_DEP_1)
	s_or_b32 exec_lo, exec_lo, s43
	v_and_b32_e32 v9, 16, v80
	v_cmp_ne_u32_e32 vcc_lo, 0, v9
	s_and_b32 s43, vcc_lo, s10
	s_delay_alu instid0(SALU_CYCLE_1)
	s_and_saveexec_b32 s10, s43
	s_cbranch_execz .LBB4_385
; %bb.384:                              ;   in Loop: Header=BB4_268 Depth=4
	global_wb scope:SCOPE_SYS
	s_wait_storecnt 0x0
	s_wait_loadcnt_dscnt 0x0
	global_inv scope:SCOPE_SYS
.LBB4_385:                              ;   in Loop: Header=BB4_268 Depth=4
	s_or_b32 exec_lo, exec_lo, s10
	v_cmp_ne_u32_e32 vcc_lo, 0, v9
	s_xor_b32 s10, s3, -1
	s_delay_alu instid0(SALU_CYCLE_1) | instskip(NEXT) | instid1(SALU_CYCLE_1)
	s_and_b32 s43, vcc_lo, s10
	s_and_saveexec_b32 s10, s43
	s_cbranch_execz .LBB4_387
; %bb.386:                              ;   in Loop: Header=BB4_268 Depth=4
	global_wb scope:SCOPE_SYS
	s_wait_storecnt 0x0
	s_wait_loadcnt_dscnt 0x0
	flat_store_b32 v[24:25], v47 scope:SCOPE_SYS
.LBB4_387:                              ;   in Loop: Header=BB4_268 Depth=4
	s_wait_xcnt 0x0
	s_or_b32 exec_lo, exec_lo, s10
	v_and_b32_e32 v9, 48, v80
	s_mov_b32 s10, exec_lo
	s_delay_alu instid0(VALU_DEP_1)
	v_cmpx_ne_u32_e32 0, v9
	s_cbranch_execz .LBB4_267
; %bb.388:                              ;   in Loop: Header=BB4_268 Depth=4
	v_add_nc_u64_e32 v[82:83], 2, v[82:83]
	global_wb scope:SCOPE_SYS
	s_wait_storecnt 0x0
	s_wait_loadcnt_dscnt 0x0
	flat_store_b64 v[18:19], v[82:83] scope:SCOPE_SYS
	s_branch .LBB4_267
.LBB4_389:                              ;   in Loop: Header=BB4_265 Depth=3
	s_or_b32 exec_lo, exec_lo, s40
.LBB4_390:                              ;   in Loop: Header=BB4_265 Depth=3
	s_delay_alu instid0(SALU_CYCLE_1) | instskip(NEXT) | instid1(SALU_CYCLE_1)
	s_or_b32 exec_lo, exec_lo, s29
	s_mov_b32 s29, exec_lo
	v_cmpx_gt_i32_e32 2, v9
	s_cbranch_execz .LBB4_264
; %bb.391:                              ;   in Loop: Header=BB4_265 Depth=3
	v_cmp_eq_u32_e64 s41, 0, v9
	s_mov_b32 s40, 0
	s_branch .LBB4_393
.LBB4_392:                              ;   in Loop: Header=BB4_393 Depth=4
	s_wait_xcnt 0x0
	s_or_b32 exec_lo, exec_lo, s10
	v_add_nc_u32_e32 v116, v8, v116
	s_mov_b32 s41, 0
	s_and_not1_b32 exec_lo, exec_lo, s40
	s_cbranch_execz .LBB4_263
.LBB4_393:                              ;   Parent Loop BB4_53 Depth=1
                                        ;     Parent Loop BB4_89 Depth=2
                                        ;       Parent Loop BB4_265 Depth=3
                                        ; =>      This Loop Header: Depth=4
                                        ;           Child Loop BB4_399 Depth 5
                                        ;           Child Loop BB4_427 Depth 5
	s_delay_alu instid0(VALU_DEP_1) | instskip(SKIP_2) | instid1(VALU_DEP_2)
	v_sub_nc_u32_e32 v9, v114, v116
	v_and_b32_e32 v34, 12, v80
	s_mov_b32 s42, exec_lo
	v_min_i32_e32 v8, v8, v9
	s_delay_alu instid0(VALU_DEP_2)
	v_cmpx_ne_u32_e32 0, v34
	s_cbranch_execz .LBB4_419
; %bb.394:                              ;   in Loop: Header=BB4_393 Depth=4
	v_and_b32_e32 v34, 8, v80
	v_add_nc_u64_e32 v[98:99], 2, v[82:83]
	s_mov_b32 s43, exec_lo
	s_wait_loadcnt 0x0
	s_delay_alu instid0(VALU_DEP_2) | instskip(NEXT) | instid1(VALU_DEP_1)
	v_add_nc_u64_e32 v[100:101], v[26:27], v[34:35]
	v_cmpx_lt_u64_e64 v[100:101], v[98:99]
	s_cbranch_execz .LBB4_406
; %bb.395:                              ;   in Loop: Header=BB4_393 Depth=4
	v_and_b32_e32 v9, 64, v80
	s_mov_b32 s44, 0
	s_mov_b32 s56, 0
                                        ; implicit-def: $sgpr45
                                        ; implicit-def: $sgpr46
                                        ; implicit-def: $sgpr47
	s_delay_alu instid0(VALU_DEP_1)
	v_cmp_eq_u32_e32 vcc_lo, 0, v9
	s_branch .LBB4_399
.LBB4_396:                              ;   in Loop: Header=BB4_399 Depth=5
	s_wait_loadcnt_dscnt 0x0
	v_add_nc_u64_e32 v[100:101], v[26:27], v[34:35]
	s_or_b32 s59, s59, exec_lo
	s_delay_alu instid0(VALU_DEP_1)
	v_cmp_ge_u64_e64 s10, v[100:101], v[98:99]
	s_or_not1_b32 s58, s10, exec_lo
.LBB4_397:                              ;   in Loop: Header=BB4_399 Depth=5
	s_or_b32 exec_lo, exec_lo, s61
	s_delay_alu instid0(SALU_CYCLE_1)
	s_and_not1_b32 s10, s47, exec_lo
	s_and_b32 s47, s59, exec_lo
	s_and_not1_b32 s46, s46, exec_lo
	s_and_b32 s58, s58, exec_lo
	s_or_b32 s47, s10, s47
	s_or_b32 s46, s46, s58
.LBB4_398:                              ;   in Loop: Header=BB4_399 Depth=5
	s_or_b32 exec_lo, exec_lo, s57
	s_delay_alu instid0(SALU_CYCLE_1) | instskip(NEXT) | instid1(SALU_CYCLE_1)
	s_and_b32 s10, exec_lo, s46
	s_or_b32 s44, s10, s44
	s_and_not1_b32 s10, s45, exec_lo
	s_and_b32 s45, s47, exec_lo
	s_delay_alu instid0(SALU_CYCLE_1)
	s_or_b32 s45, s10, s45
	s_and_not1_b32 exec_lo, exec_lo, s44
	s_cbranch_execz .LBB4_403
.LBB4_399:                              ;   Parent Loop BB4_53 Depth=1
                                        ;     Parent Loop BB4_89 Depth=2
                                        ;       Parent Loop BB4_265 Depth=3
                                        ;         Parent Loop BB4_393 Depth=4
                                        ; =>        This Inner Loop Header: Depth=5
	s_sleep 1
	s_wait_loadcnt_dscnt 0x0
	flat_load_b64 v[26:27], v[18:19] scope:SCOPE_SYS
	s_or_b32 s47, s47, exec_lo
	s_or_b32 s46, s46, exec_lo
                                        ; implicit-def: $vgpr9
	s_wait_xcnt 0x0
	s_and_saveexec_b32 s57, vcc_lo
	s_cbranch_execz .LBB4_398
; %bb.400:                              ;   in Loop: Header=BB4_399 Depth=5
	s_cmp_lt_i32 s56, 0x270f
	s_mov_b32 s58, -1
	s_cselect_b32 s60, -1, 0
	s_cmp_gt_i32 s56, 0x270e
	s_cbranch_scc0 .LBB4_402
; %bb.401:                              ;   in Loop: Header=BB4_399 Depth=5
	s_trap 2
	ds_load_b64 v[100:101], v0
	s_and_not1_b32 s56, s60, exec_lo
	s_mov_b32 s59, 0
	s_wait_storecnt 0x0
	s_wait_loadcnt_dscnt 0x0
	flat_load_b32 v9, v[100:101] scope:SCOPE_SYS
	s_wait_loadcnt_dscnt 0x0
	global_inv scope:SCOPE_SYS
	v_cmp_eq_u32_e64 s10, 0, v9
	s_and_b32 s10, s10, exec_lo
	s_delay_alu instid0(SALU_CYCLE_1)
	s_or_b32 s60, s56, s10
	s_mov_b32 s56, 0
	s_and_saveexec_b32 s61, s60
	s_cbranch_execz .LBB4_397
	s_branch .LBB4_396
.LBB4_402:                              ;   in Loop: Header=BB4_399 Depth=5
	s_add_co_i32 s56, s56, 1
	s_mov_b32 s59, -1
                                        ; implicit-def: $vgpr9
	s_and_saveexec_b32 s61, s60
	s_cbranch_execz .LBB4_397
	s_branch .LBB4_396
.LBB4_403:                              ;   in Loop: Header=BB4_393 Depth=4
	s_or_b32 exec_lo, exec_lo, s44
	s_xor_b32 s10, s45, -1
	s_delay_alu instid0(SALU_CYCLE_1) | instskip(NEXT) | instid1(SALU_CYCLE_1)
	s_and_saveexec_b32 s44, s10
	s_xor_b32 s10, exec_lo, s44
	s_cbranch_execz .LBB4_405
; %bb.404:                              ;   in Loop: Header=BB4_393 Depth=4
	v_or_b32_e32 v80, 64, v80
	s_wait_storecnt 0x0
	s_wait_loadcnt_dscnt 0x0
	ds_store_b32 v0, v9
	s_trap 2
.LBB4_405:                              ;   in Loop: Header=BB4_393 Depth=4
	s_or_b32 exec_lo, exec_lo, s10
.LBB4_406:                              ;   in Loop: Header=BB4_393 Depth=4
	s_delay_alu instid0(SALU_CYCLE_1) | instskip(SKIP_4) | instid1(VALU_DEP_2)
	s_or_b32 exec_lo, exec_lo, s43
	v_and_b32_e32 v9, 0x108, v80
	v_and_b32_e32 v82, 7, v82
	s_mov_b32 s10, exec_lo
	;;#ASMSTART
	s_wakeup
	;;#ASMEND
	v_cmpx_ne_u32_e32 0x108, v9
	s_xor_b32 s10, exec_lo, s10
; %bb.407:                              ;   in Loop: Header=BB4_393 Depth=4
	v_mov_b32_e32 v83, v35
; %bb.408:                              ;   in Loop: Header=BB4_393 Depth=4
	s_and_not1_saveexec_b32 s10, s10
	s_cbranch_execz .LBB4_410
; %bb.409:                              ;   in Loop: Header=BB4_393 Depth=4
	v_mad_nc_u64_u32 v[100:101], v82, 24, v[4:5]
	v_dual_ashrrev_i32 v9, 31, v8 :: v_dual_mov_b32 v83, v35
	flat_store_b64 v[100:101], v[8:9] offset:8
.LBB4_410:                              ;   in Loop: Header=BB4_393 Depth=4
	s_wait_xcnt 0x0
	s_or_b32 exec_lo, exec_lo, s10
	v_and_b32_e32 v9, 0x100, v80
	s_mov_b32 s10, -1
	s_mov_b32 s43, exec_lo
                                        ; implicit-def: $vgpr100_vgpr101
	s_delay_alu instid0(VALU_DEP_1)
	v_cmpx_ne_u32_e32 0, v9
	s_cbranch_execz .LBB4_414
; %bb.411:                              ;   in Loop: Header=BB4_393 Depth=4
	v_mad_nc_u64_u32 v[102:103], v82, 24, v[4:5]
	s_mov_b32 s44, exec_lo
                                        ; implicit-def: $vgpr100_vgpr101
	s_delay_alu instid0(VALU_DEP_1)
	v_mad_u32 v103, v83, 24, v103
	flat_load_b32 v9, v[102:103]
	s_wait_loadcnt_dscnt 0x0
	v_cmp_ne_u32_e32 vcc_lo, 1, v9
	s_wait_xcnt 0x0
	v_cmpx_eq_u32_e32 1, v9
	s_cbranch_execz .LBB4_413
; %bb.412:                              ;   in Loop: Header=BB4_393 Depth=4
	flat_load_b32 v100, v[102:103] offset:4 scope:SCOPE_SYS
	s_wait_loadcnt_dscnt 0x0
	v_ashrrev_i32_e32 v101, 31, v100
.LBB4_413:                              ;   in Loop: Header=BB4_393 Depth=4
	s_wait_xcnt 0x0
	s_or_b32 exec_lo, exec_lo, s44
	s_delay_alu instid0(SALU_CYCLE_1)
	s_or_not1_b32 s10, vcc_lo, exec_lo
.LBB4_414:                              ;   in Loop: Header=BB4_393 Depth=4
	s_or_b32 exec_lo, exec_lo, s43
	s_and_saveexec_b32 s43, s10
; %bb.415:                              ;   in Loop: Header=BB4_393 Depth=4
	v_mul_u64_e32 v[100:101], v[82:83], v[20:21]
; %bb.416:                              ;   in Loop: Header=BB4_393 Depth=4
	s_or_b32 exec_lo, exec_lo, s43
	v_cmp_eq_u32_e32 vcc_lo, 0, v34
	s_delay_alu instid0(VALU_DEP_2) | instskip(SKIP_3) | instid1(VALU_DEP_1)
	v_add_nc_u64_e32 v[82:83], v[22:23], v[100:101]
	v_and_b32_e32 v34, 0x2000, v80
	s_mov_b32 s10, exec_lo
	v_cndmask_b32_e32 v9, 0xc8, v57, vcc_lo
	v_add_nc_u32_e32 v9, v0, v9
	ds_store_b64 v9, v[82:83] offset:584
	v_cmpx_ne_u32_e32 0, v34
	s_cbranch_execz .LBB4_418
; %bb.417:                              ;   in Loop: Header=BB4_393 Depth=4
	ds_load_b64 v[82:83], v0 offset:872
	s_wait_dscnt 0x0
	v_add_nc_u64_e32 v[82:83], 1, v[82:83]
	ds_store_b64 v0, v[82:83] offset:872
.LBB4_418:                              ;   in Loop: Header=BB4_393 Depth=4
	s_or_b32 exec_lo, exec_lo, s10
	v_mov_b64_e32 v[82:83], v[98:99]
.LBB4_419:                              ;   in Loop: Header=BB4_393 Depth=4
	s_or_b32 exec_lo, exec_lo, s42
	s_xor_b32 s10, s41, -1
	s_delay_alu instid0(SALU_CYCLE_1) | instskip(NEXT) | instid1(SALU_CYCLE_1)
	s_and_b32 s10, exec_lo, s10
	s_or_b32 s40, s10, s40
	s_and_saveexec_b32 s10, s1
	s_cbranch_execz .LBB4_438
; %bb.420:                              ;   in Loop: Header=BB4_393 Depth=4
	s_and_saveexec_b32 s41, s2
	s_delay_alu instid0(SALU_CYCLE_1)
	s_xor_b32 s41, exec_lo, s41
	s_cbranch_execz .LBB4_435
; %bb.421:                              ;   in Loop: Header=BB4_393 Depth=4
	s_and_saveexec_b32 s42, s5
	s_cbranch_execz .LBB4_434
; %bb.422:                              ;   in Loop: Header=BB4_393 Depth=4
	s_mov_b32 s44, exec_lo
	s_mov_b32 s43, exec_lo
	v_mbcnt_lo_u32_b32 v9, s44, 0
	global_wb scope:SCOPE_DEV
	s_wait_storecnt 0x0
	s_wait_loadcnt_dscnt 0x0
	global_inv scope:SCOPE_DEV
	v_cmpx_eq_u32_e32 0, v9
	s_cbranch_execz .LBB4_424
; %bb.423:                              ;   in Loop: Header=BB4_393 Depth=4
	s_bcnt1_i32_b32 s44, s44
	s_delay_alu instid0(SALU_CYCLE_1)
	v_mov_b32_e32 v34, s44
	s_wait_loadcnt 0x0
	ds_add_u64 v0, v[34:35]
	s_trap 2
.LBB4_424:                              ;   in Loop: Header=BB4_393 Depth=4
	s_or_b32 exec_lo, exec_lo, s43
	s_trap 2
	ds_load_b64 v[98:99], v0
	s_wait_dscnt 0x0
	v_add_nc_u64_e32 v[10:11], v[10:11], v[36:37]
	s_mov_b32 s43, exec_lo
	s_delay_alu instid0(VALU_DEP_1)
	v_cmpx_lt_u64_e64 v[98:99], v[10:11]
	s_cbranch_execz .LBB4_433
; %bb.425:                              ;   in Loop: Header=BB4_393 Depth=4
	s_mov_b32 s44, 0
	s_mov_b32 s47, 0
                                        ; implicit-def: $sgpr45
                                        ; implicit-def: $sgpr46
	s_branch .LBB4_427
.LBB4_426:                              ;   in Loop: Header=BB4_427 Depth=5
	s_or_b32 exec_lo, exec_lo, s57
	s_delay_alu instid0(SALU_CYCLE_1) | instskip(NEXT) | instid1(SALU_CYCLE_1)
	s_and_b32 s56, exec_lo, s58
	s_or_b32 s44, s56, s44
	s_and_not1_b32 s45, s45, exec_lo
	s_and_b32 s56, s46, exec_lo
	s_delay_alu instid0(SALU_CYCLE_1)
	s_or_b32 s45, s45, s56
	s_and_not1_b32 exec_lo, exec_lo, s44
	s_cbranch_execz .LBB4_431
.LBB4_427:                              ;   Parent Loop BB4_53 Depth=1
                                        ;     Parent Loop BB4_89 Depth=2
                                        ;       Parent Loop BB4_265 Depth=3
                                        ;         Parent Loop BB4_393 Depth=4
                                        ; =>        This Inner Loop Header: Depth=5
	s_add_co_i32 s47, s47, 1
	s_delay_alu instid0(SALU_CYCLE_1) | instskip(SKIP_1) | instid1(SALU_CYCLE_1)
	s_cmp_lg_u32 s47, 0x2710
	s_cselect_b32 s56, -1, 0
	s_and_b32 vcc_lo, exec_lo, s56
	s_cbranch_vccz .LBB4_429
; %bb.428:                              ;   in Loop: Header=BB4_427 Depth=5
	s_mov_b32 s58, -1
	s_or_b32 s46, s46, exec_lo
	s_and_saveexec_b32 s57, s56
	s_cbranch_execz .LBB4_426
	s_branch .LBB4_430
.LBB4_429:                              ;   in Loop: Header=BB4_427 Depth=5
	s_trap 2
	ds_load_b64 v[98:99], v0
	s_and_not1_b32 s56, s56, exec_lo
	s_mov_b32 s47, 0
	s_wait_loadcnt_dscnt 0x0
	flat_load_b32 v9, v[98:99] scope:SCOPE_SYS
	s_wait_loadcnt_dscnt 0x0
	global_inv scope:SCOPE_SYS
	v_cmp_eq_u32_e32 vcc_lo, 0, v9
	s_and_b32 s57, vcc_lo, exec_lo
	s_delay_alu instid0(SALU_CYCLE_1)
	s_or_b32 s56, s56, s57
	s_mov_b32 s58, -1
	s_or_b32 s46, s46, exec_lo
	s_and_saveexec_b32 s57, s56
	s_cbranch_execz .LBB4_426
.LBB4_430:                              ;   in Loop: Header=BB4_427 Depth=5
	s_sleep 1
	s_trap 2
	ds_load_b64 v[98:99], v0
	s_wait_dscnt 0x0
	s_and_not1_b32 s46, s46, exec_lo
	v_cmp_ge_u64_e32 vcc_lo, v[98:99], v[10:11]
	s_or_not1_b32 s58, vcc_lo, exec_lo
	s_branch .LBB4_426
.LBB4_431:                              ;   in Loop: Header=BB4_393 Depth=4
	s_or_b32 exec_lo, exec_lo, s44
	s_and_saveexec_b32 s44, s45
	s_delay_alu instid0(SALU_CYCLE_1)
	s_xor_b32 s44, exec_lo, s44
	s_cbranch_execz .LBB4_433
; %bb.432:                              ;   in Loop: Header=BB4_393 Depth=4
	ds_store_b32 v0, v47
	s_trap 2
.LBB4_433:                              ;   in Loop: Header=BB4_393 Depth=4
	s_or_b32 exec_lo, exec_lo, s43
	;;#ASMSTART
	s_wakeup
	;;#ASMEND
.LBB4_434:                              ;   in Loop: Header=BB4_393 Depth=4
	s_or_b32 exec_lo, exec_lo, s42
.LBB4_435:                              ;   in Loop: Header=BB4_393 Depth=4
	s_and_not1_saveexec_b32 s41, s41
	s_cbranch_execz .LBB4_437
; %bb.436:                              ;   in Loop: Header=BB4_393 Depth=4
	global_wb scope:SCOPE_DEV
	s_wait_storecnt 0x0
	s_wait_loadcnt_dscnt 0x0
	global_inv scope:SCOPE_DEV
	s_barrier_signal -1
	s_barrier_wait -1
.LBB4_437:                              ;   in Loop: Header=BB4_393 Depth=4
	s_or_b32 exec_lo, exec_lo, s41
.LBB4_438:                              ;   in Loop: Header=BB4_393 Depth=4
	s_delay_alu instid0(SALU_CYCLE_1)
	s_or_b32 exec_lo, exec_lo, s10
	s_trap 2
	ds_load_b32 v9, v0
	v_cmp_lt_i32_e32 vcc_lo, 0, v8
	s_wait_dscnt 0x0
	v_readfirstlane_b32 s10, v9
	v_and_b32_e32 v9, 16, v80
	s_cmp_eq_u32 s10, 0
	s_delay_alu instid0(VALU_DEP_1) | instskip(SKIP_1) | instid1(SALU_CYCLE_1)
	v_cmp_ne_u32_e64 s10, 0, v9
	s_cselect_b32 s41, -1, 0
	s_and_b32 s41, vcc_lo, s41
	s_delay_alu instid0(SALU_CYCLE_1) | instskip(NEXT) | instid1(SALU_CYCLE_1)
	s_and_b32 s41, s10, s41
	s_and_saveexec_b32 s10, s41
	s_cbranch_execz .LBB4_440
; %bb.439:                              ;   in Loop: Header=BB4_393 Depth=4
	global_wb scope:SCOPE_SYS
	s_wait_loadcnt 0x0
	s_wait_storecnt 0x0
	global_inv scope:SCOPE_SYS
.LBB4_440:                              ;   in Loop: Header=BB4_393 Depth=4
	s_or_b32 exec_lo, exec_lo, s10
	v_cmp_ne_u32_e32 vcc_lo, 0, v9
	s_xor_b32 s10, s3, -1
	s_delay_alu instid0(SALU_CYCLE_1) | instskip(NEXT) | instid1(SALU_CYCLE_1)
	s_and_b32 s41, vcc_lo, s10
	s_and_saveexec_b32 s10, s41
	s_cbranch_execz .LBB4_442
; %bb.441:                              ;   in Loop: Header=BB4_393 Depth=4
	global_wb scope:SCOPE_SYS
	s_wait_loadcnt 0x0
	s_wait_storecnt 0x0
	flat_store_b32 v[24:25], v47 scope:SCOPE_SYS
.LBB4_442:                              ;   in Loop: Header=BB4_393 Depth=4
	s_wait_xcnt 0x0
	s_or_b32 exec_lo, exec_lo, s10
	v_and_b32_e32 v9, 48, v80
	s_mov_b32 s10, exec_lo
	s_delay_alu instid0(VALU_DEP_1)
	v_cmpx_ne_u32_e32 0, v9
	s_cbranch_execz .LBB4_392
; %bb.443:                              ;   in Loop: Header=BB4_393 Depth=4
	v_add_nc_u64_e32 v[82:83], 2, v[82:83]
	global_wb scope:SCOPE_SYS
	s_wait_storecnt 0x0
	s_wait_loadcnt_dscnt 0x0
	flat_store_b64 v[18:19], v[82:83] scope:SCOPE_SYS
	s_branch .LBB4_392
.LBB4_444:                              ;   in Loop: Header=BB4_89 Depth=2
	v_add_nc_u64_e32 v[98:99], v[6:7], v[96:97]
	s_delay_alu instid0(VALU_DEP_1) | instskip(SKIP_1) | instid1(VALU_DEP_2)
	v_dual_mov_b32 v9, 0 :: v_dual_max_i32 v116, 0, v98
	v_cmp_lt_i32_e32 vcc_lo, 0, v98
	v_add_nc_u32_e32 v8, 31, v116
	s_and_b32 s10, s11, vcc_lo
	s_delay_alu instid0(VALU_DEP_1) | instskip(NEXT) | instid1(VALU_DEP_1)
	v_lshrrev_b32_e32 v8, 1, v8
	v_and_b32_e32 v8, 0x3ffffff0, v8
	s_delay_alu instid0(VALU_DEP_1)
	v_dual_mov_b32 v8, 0 :: v_dual_max_i32 v117, s21, v8
	s_and_saveexec_b32 s27, s10
	s_cbranch_execz .LBB4_563
; %bb.445:                              ;   in Loop: Header=BB4_89 Depth=2
	v_mov_b32_e32 v8, 0
	s_mov_b32 s40, 1
	s_mov_b32 s29, -1
	s_mov_b32 s28, 0
	s_branch .LBB4_447
.LBB4_446:                              ;   in Loop: Header=BB4_447 Depth=3
	s_wait_xcnt 0x0
	s_or_b32 exec_lo, exec_lo, s10
	v_dual_mov_b32 v9, s40 :: v_dual_add_nc_u32 v8, v117, v8
	s_xor_b32 s10, s29, -1
	s_mov_b32 s29, 0
	s_mov_b32 s40, 2
	s_delay_alu instid0(VALU_DEP_1) | instskip(SKIP_1) | instid1(SALU_CYCLE_1)
	v_cmp_ge_i32_e32 vcc_lo, v8, v116
	s_or_b32 s10, s10, vcc_lo
	s_and_b32 s10, exec_lo, s10
	s_delay_alu instid0(SALU_CYCLE_1) | instskip(NEXT) | instid1(SALU_CYCLE_1)
	s_or_b32 s28, s10, s28
	s_and_not1_b32 exec_lo, exec_lo, s28
	s_cbranch_execz .LBB4_562
.LBB4_447:                              ;   Parent Loop BB4_53 Depth=1
                                        ;     Parent Loop BB4_89 Depth=2
                                        ; =>    This Loop Header: Depth=3
                                        ;         Child Loop BB4_455 Depth 4
                                        ;         Child Loop BB4_479 Depth 4
	;; [unrolled: 1-line block ×8, first 2 shown]
	s_and_saveexec_b32 s10, s0
	s_cbranch_execz .LBB4_449
; %bb.448:                              ;   in Loop: Header=BB4_447 Depth=3
	s_trap 2
	ds_load_b128 v[100:103], v0
	s_wait_dscnt 0x0
	v_add_nc_u64_e32 v[112:113], v[102:103], v[98:99]
	v_cmp_ne_u64_e32 vcc_lo, 0, v[102:103]
	v_ashrrev_i32_e32 v9, 31, v8
	v_add_nc_u64_e32 v[100:101], v[100:101], v[98:99]
	s_delay_alu instid0(VALU_DEP_2) | instskip(NEXT) | instid1(VALU_DEP_1)
	v_add_nc_u64_e32 v[112:113], v[112:113], v[8:9]
	v_cndmask_b32_e32 v103, 0, v113, vcc_lo
	s_delay_alu instid0(VALU_DEP_3) | instskip(NEXT) | instid1(VALU_DEP_3)
	v_add_nc_u64_e32 v[100:101], v[100:101], v[8:9]
	v_cndmask_b32_e32 v102, 0, v112, vcc_lo
	ds_store_b64 v0, v[100:101]
	ds_store_b64 v0, v[102:103]
.LBB4_449:                              ;   in Loop: Header=BB4_447 Depth=3
	s_or_b32 exec_lo, exec_lo, s10
	v_and_b32_e32 v9, 4, v80
	s_mov_b32 s41, exec_lo
	s_delay_alu instid0(VALU_DEP_1)
	v_cmpx_ne_u32_e32 0, v9
	s_cbranch_execz .LBB4_471
; %bb.450:                              ;   in Loop: Header=BB4_447 Depth=3
	v_add_nc_u64_e32 v[100:101], 2, v[82:83]
	s_mov_b32 s42, exec_lo
	s_wait_loadcnt 0x0
	s_delay_alu instid0(VALU_DEP_1)
	v_cmpx_lt_u64_e64 v[26:27], v[100:101]
	s_cbranch_execz .LBB4_462
; %bb.451:                              ;   in Loop: Header=BB4_447 Depth=3
	v_and_b32_e32 v9, 64, v80
	s_mov_b32 s43, 0
	s_mov_b32 s47, 0
                                        ; implicit-def: $sgpr44
                                        ; implicit-def: $sgpr45
                                        ; implicit-def: $sgpr46
	s_delay_alu instid0(VALU_DEP_1)
	v_cmp_eq_u32_e32 vcc_lo, 0, v9
	s_branch .LBB4_455
.LBB4_452:                              ;   in Loop: Header=BB4_455 Depth=4
	s_wait_loadcnt_dscnt 0x0
	v_cmp_ge_u64_e64 s10, v[26:27], v[100:101]
	s_or_b32 s58, s58, exec_lo
	s_or_not1_b32 s57, s10, exec_lo
.LBB4_453:                              ;   in Loop: Header=BB4_455 Depth=4
	s_or_b32 exec_lo, exec_lo, s60
	s_delay_alu instid0(SALU_CYCLE_1)
	s_and_not1_b32 s10, s46, exec_lo
	s_and_b32 s46, s58, exec_lo
	s_and_not1_b32 s45, s45, exec_lo
	s_and_b32 s57, s57, exec_lo
	s_or_b32 s46, s10, s46
	s_or_b32 s45, s45, s57
.LBB4_454:                              ;   in Loop: Header=BB4_455 Depth=4
	s_or_b32 exec_lo, exec_lo, s56
	s_delay_alu instid0(SALU_CYCLE_1) | instskip(NEXT) | instid1(SALU_CYCLE_1)
	s_and_b32 s10, exec_lo, s45
	s_or_b32 s43, s10, s43
	s_and_not1_b32 s10, s44, exec_lo
	s_and_b32 s44, s46, exec_lo
	s_delay_alu instid0(SALU_CYCLE_1)
	s_or_b32 s44, s10, s44
	s_and_not1_b32 exec_lo, exec_lo, s43
	s_cbranch_execz .LBB4_459
.LBB4_455:                              ;   Parent Loop BB4_53 Depth=1
                                        ;     Parent Loop BB4_89 Depth=2
                                        ;       Parent Loop BB4_447 Depth=3
                                        ; =>      This Inner Loop Header: Depth=4
	s_sleep 1
	s_wait_loadcnt_dscnt 0x0
	flat_load_b64 v[26:27], v[18:19] scope:SCOPE_SYS
	s_or_b32 s46, s46, exec_lo
	s_or_b32 s45, s45, exec_lo
                                        ; implicit-def: $vgpr9
	s_wait_xcnt 0x0
	s_and_saveexec_b32 s56, vcc_lo
	s_cbranch_execz .LBB4_454
; %bb.456:                              ;   in Loop: Header=BB4_455 Depth=4
	s_cmp_lt_i32 s47, 0x270f
	s_mov_b32 s57, -1
	s_cselect_b32 s59, -1, 0
	s_cmp_gt_i32 s47, 0x270e
	s_cbranch_scc0 .LBB4_458
; %bb.457:                              ;   in Loop: Header=BB4_455 Depth=4
	s_trap 2
	ds_load_b64 v[102:103], v0
	s_and_not1_b32 s47, s59, exec_lo
	s_mov_b32 s58, 0
	s_wait_storecnt 0x0
	s_wait_loadcnt_dscnt 0x0
	flat_load_b32 v9, v[102:103] scope:SCOPE_SYS
	s_wait_loadcnt_dscnt 0x0
	global_inv scope:SCOPE_SYS
	v_cmp_eq_u32_e64 s10, 0, v9
	s_and_b32 s10, s10, exec_lo
	s_delay_alu instid0(SALU_CYCLE_1)
	s_or_b32 s59, s47, s10
	s_mov_b32 s47, 0
	s_and_saveexec_b32 s60, s59
	s_cbranch_execz .LBB4_453
	s_branch .LBB4_452
.LBB4_458:                              ;   in Loop: Header=BB4_455 Depth=4
	s_add_co_i32 s47, s47, 1
	s_mov_b32 s58, -1
                                        ; implicit-def: $vgpr9
	s_and_saveexec_b32 s60, s59
	s_cbranch_execz .LBB4_453
	s_branch .LBB4_452
.LBB4_459:                              ;   in Loop: Header=BB4_447 Depth=3
	s_or_b32 exec_lo, exec_lo, s43
	s_xor_b32 s10, s44, -1
	s_delay_alu instid0(SALU_CYCLE_1) | instskip(NEXT) | instid1(SALU_CYCLE_1)
	s_and_saveexec_b32 s43, s10
	s_xor_b32 s10, exec_lo, s43
	s_cbranch_execz .LBB4_461
; %bb.460:                              ;   in Loop: Header=BB4_447 Depth=3
	v_or_b32_e32 v80, 64, v80
	s_wait_storecnt 0x0
	s_wait_loadcnt_dscnt 0x0
	ds_store_b32 v0, v9
	s_trap 2
.LBB4_461:                              ;   in Loop: Header=BB4_447 Depth=3
	s_or_b32 exec_lo, exec_lo, s10
.LBB4_462:                              ;   in Loop: Header=BB4_447 Depth=3
	s_delay_alu instid0(SALU_CYCLE_1)
	s_or_b32 exec_lo, exec_lo, s42
	v_and_b32_e32 v9, 0x100, v80
	v_and_b32_e32 v34, 7, v82
	s_mov_b32 s10, -1
	s_mov_b32 s42, exec_lo
	;;#ASMSTART
	s_wakeup
	;;#ASMEND
                                        ; implicit-def: $vgpr82_vgpr83
	v_cmpx_ne_u32_e32 0, v9
	s_cbranch_execz .LBB4_466
; %bb.463:                              ;   in Loop: Header=BB4_447 Depth=3
	v_mad_nc_u64_u32 v[102:103], v34, 24, v[4:5]
	s_mov_b32 s43, exec_lo
                                        ; implicit-def: $vgpr82_vgpr83
	flat_load_b32 v9, v[102:103]
	s_wait_loadcnt_dscnt 0x0
	v_cmp_ne_u32_e32 vcc_lo, 1, v9
	s_wait_xcnt 0x0
	v_cmpx_eq_u32_e32 1, v9
	s_cbranch_execz .LBB4_465
; %bb.464:                              ;   in Loop: Header=BB4_447 Depth=3
	flat_load_b32 v82, v[102:103] offset:4 scope:SCOPE_SYS
	s_wait_loadcnt_dscnt 0x0
	v_ashrrev_i32_e32 v83, 31, v82
.LBB4_465:                              ;   in Loop: Header=BB4_447 Depth=3
	s_wait_xcnt 0x0
	s_or_b32 exec_lo, exec_lo, s43
	s_delay_alu instid0(SALU_CYCLE_1)
	s_or_not1_b32 s10, vcc_lo, exec_lo
.LBB4_466:                              ;   in Loop: Header=BB4_447 Depth=3
	s_or_b32 exec_lo, exec_lo, s42
	s_and_saveexec_b32 s42, s10
; %bb.467:                              ;   in Loop: Header=BB4_447 Depth=3
	v_mul_u64_e32 v[82:83], v[34:35], v[20:21]
; %bb.468:                              ;   in Loop: Header=BB4_447 Depth=3
	s_or_b32 exec_lo, exec_lo, s42
	s_delay_alu instid0(VALU_DEP_1)
	v_add_nc_u64_e32 v[82:83], v[22:23], v[82:83]
	v_and_b32_e32 v9, 0x2000, v80
	s_mov_b32 s10, exec_lo
	ds_store_b64 v0, v[82:83] offset:720
	v_cmpx_ne_u32_e32 0, v9
	s_cbranch_execz .LBB4_470
; %bb.469:                              ;   in Loop: Header=BB4_447 Depth=3
	ds_load_b64 v[82:83], v0 offset:872
	s_wait_dscnt 0x0
	v_add_nc_u64_e32 v[82:83], 1, v[82:83]
	ds_store_b64 v0, v[82:83] offset:872
.LBB4_470:                              ;   in Loop: Header=BB4_447 Depth=3
	s_or_b32 exec_lo, exec_lo, s10
	v_mov_b64_e32 v[82:83], v[100:101]
.LBB4_471:                              ;   in Loop: Header=BB4_447 Depth=3
	s_or_b32 exec_lo, exec_lo, s41
	s_and_saveexec_b32 s10, s1
	s_cbranch_execz .LBB4_490
; %bb.472:                              ;   in Loop: Header=BB4_447 Depth=3
	s_and_saveexec_b32 s41, s2
	s_delay_alu instid0(SALU_CYCLE_1)
	s_xor_b32 s41, exec_lo, s41
	s_cbranch_execz .LBB4_487
; %bb.473:                              ;   in Loop: Header=BB4_447 Depth=3
	s_and_saveexec_b32 s42, s5
	s_cbranch_execz .LBB4_486
; %bb.474:                              ;   in Loop: Header=BB4_447 Depth=3
	s_mov_b32 s44, exec_lo
	s_mov_b32 s43, exec_lo
	v_mbcnt_lo_u32_b32 v9, s44, 0
	global_wb scope:SCOPE_DEV
	s_wait_storecnt 0x0
	s_wait_loadcnt_dscnt 0x0
	global_inv scope:SCOPE_DEV
	v_cmpx_eq_u32_e32 0, v9
	s_cbranch_execz .LBB4_476
; %bb.475:                              ;   in Loop: Header=BB4_447 Depth=3
	s_bcnt1_i32_b32 s44, s44
	s_delay_alu instid0(SALU_CYCLE_1)
	v_mov_b32_e32 v34, s44
	s_wait_loadcnt 0x0
	ds_add_u64 v0, v[34:35]
	s_trap 2
.LBB4_476:                              ;   in Loop: Header=BB4_447 Depth=3
	s_or_b32 exec_lo, exec_lo, s43
	s_trap 2
	ds_load_b64 v[100:101], v0
	s_wait_dscnt 0x0
	v_add_nc_u64_e32 v[10:11], v[10:11], v[36:37]
	s_mov_b32 s43, exec_lo
	s_delay_alu instid0(VALU_DEP_1)
	v_cmpx_lt_u64_e64 v[100:101], v[10:11]
	s_cbranch_execz .LBB4_485
; %bb.477:                              ;   in Loop: Header=BB4_447 Depth=3
	s_mov_b32 s44, 0
	s_mov_b32 s47, 0
                                        ; implicit-def: $sgpr45
                                        ; implicit-def: $sgpr46
	s_branch .LBB4_479
.LBB4_478:                              ;   in Loop: Header=BB4_479 Depth=4
	s_or_b32 exec_lo, exec_lo, s57
	s_delay_alu instid0(SALU_CYCLE_1) | instskip(NEXT) | instid1(SALU_CYCLE_1)
	s_and_b32 s56, exec_lo, s58
	s_or_b32 s44, s56, s44
	s_and_not1_b32 s45, s45, exec_lo
	s_and_b32 s56, s46, exec_lo
	s_delay_alu instid0(SALU_CYCLE_1)
	s_or_b32 s45, s45, s56
	s_and_not1_b32 exec_lo, exec_lo, s44
	s_cbranch_execz .LBB4_483
.LBB4_479:                              ;   Parent Loop BB4_53 Depth=1
                                        ;     Parent Loop BB4_89 Depth=2
                                        ;       Parent Loop BB4_447 Depth=3
                                        ; =>      This Inner Loop Header: Depth=4
	s_add_co_i32 s47, s47, 1
	s_delay_alu instid0(SALU_CYCLE_1) | instskip(SKIP_1) | instid1(SALU_CYCLE_1)
	s_cmp_lg_u32 s47, 0x2710
	s_cselect_b32 s56, -1, 0
	s_and_b32 vcc_lo, exec_lo, s56
	s_cbranch_vccz .LBB4_481
; %bb.480:                              ;   in Loop: Header=BB4_479 Depth=4
	s_mov_b32 s58, -1
	s_or_b32 s46, s46, exec_lo
	s_and_saveexec_b32 s57, s56
	s_cbranch_execz .LBB4_478
	s_branch .LBB4_482
.LBB4_481:                              ;   in Loop: Header=BB4_479 Depth=4
	s_trap 2
	ds_load_b64 v[100:101], v0
	s_and_not1_b32 s56, s56, exec_lo
	s_mov_b32 s47, 0
	s_wait_loadcnt_dscnt 0x0
	flat_load_b32 v9, v[100:101] scope:SCOPE_SYS
	s_wait_loadcnt_dscnt 0x0
	global_inv scope:SCOPE_SYS
	v_cmp_eq_u32_e32 vcc_lo, 0, v9
	s_and_b32 s57, vcc_lo, exec_lo
	s_delay_alu instid0(SALU_CYCLE_1)
	s_or_b32 s56, s56, s57
	s_mov_b32 s58, -1
	s_or_b32 s46, s46, exec_lo
	s_and_saveexec_b32 s57, s56
	s_cbranch_execz .LBB4_478
.LBB4_482:                              ;   in Loop: Header=BB4_479 Depth=4
	s_sleep 1
	s_trap 2
	ds_load_b64 v[100:101], v0
	s_wait_dscnt 0x0
	s_and_not1_b32 s46, s46, exec_lo
	v_cmp_ge_u64_e32 vcc_lo, v[100:101], v[10:11]
	s_or_not1_b32 s58, vcc_lo, exec_lo
	s_branch .LBB4_478
.LBB4_483:                              ;   in Loop: Header=BB4_447 Depth=3
	s_or_b32 exec_lo, exec_lo, s44
	s_and_saveexec_b32 s44, s45
	s_delay_alu instid0(SALU_CYCLE_1)
	s_xor_b32 s44, exec_lo, s44
	s_cbranch_execz .LBB4_485
; %bb.484:                              ;   in Loop: Header=BB4_447 Depth=3
	ds_store_b32 v0, v47
	s_trap 2
.LBB4_485:                              ;   in Loop: Header=BB4_447 Depth=3
	s_or_b32 exec_lo, exec_lo, s43
	;;#ASMSTART
	s_wakeup
	;;#ASMEND
.LBB4_486:                              ;   in Loop: Header=BB4_447 Depth=3
	s_or_b32 exec_lo, exec_lo, s42
.LBB4_487:                              ;   in Loop: Header=BB4_447 Depth=3
	s_and_not1_saveexec_b32 s41, s41
	s_cbranch_execz .LBB4_489
; %bb.488:                              ;   in Loop: Header=BB4_447 Depth=3
	global_wb scope:SCOPE_DEV
	s_wait_storecnt 0x0
	s_wait_loadcnt_dscnt 0x0
	global_inv scope:SCOPE_DEV
	s_barrier_signal -1
	s_barrier_wait -1
.LBB4_489:                              ;   in Loop: Header=BB4_447 Depth=3
	s_or_b32 exec_lo, exec_lo, s41
.LBB4_490:                              ;   in Loop: Header=BB4_447 Depth=3
	s_delay_alu instid0(SALU_CYCLE_1) | instskip(SKIP_3) | instid1(VALU_DEP_1)
	s_or_b32 exec_lo, exec_lo, s10
	s_trap 2
	ds_load_b32 v9, v0
	v_and_b32_e32 v34, 0x4000, v80
	v_cmp_ne_u32_e32 vcc_lo, 0, v34
	s_and_b32 s41, s22, vcc_lo
	s_delay_alu instid0(SALU_CYCLE_1)
	s_and_saveexec_b32 s10, s41
	s_cbranch_execz .LBB4_509
; %bb.491:                              ;   in Loop: Header=BB4_447 Depth=3
	s_and_saveexec_b32 s41, s2
	s_delay_alu instid0(SALU_CYCLE_1)
	s_xor_b32 s41, exec_lo, s41
	s_cbranch_execz .LBB4_506
; %bb.492:                              ;   in Loop: Header=BB4_447 Depth=3
	s_and_saveexec_b32 s42, s5
	s_cbranch_execz .LBB4_505
; %bb.493:                              ;   in Loop: Header=BB4_447 Depth=3
	s_mov_b32 s44, exec_lo
	s_mov_b32 s43, exec_lo
	v_mbcnt_lo_u32_b32 v34, s44, 0
	global_wb scope:SCOPE_DEV
	s_wait_storecnt 0x0
	s_wait_loadcnt_dscnt 0x0
	global_inv scope:SCOPE_DEV
	v_cmpx_eq_u32_e32 0, v34
	s_cbranch_execz .LBB4_495
; %bb.494:                              ;   in Loop: Header=BB4_447 Depth=3
	s_bcnt1_i32_b32 s44, s44
	s_delay_alu instid0(SALU_CYCLE_1)
	v_mov_b32_e32 v34, s44
	s_wait_loadcnt 0x0
	ds_add_u64 v0, v[34:35]
	s_trap 2
.LBB4_495:                              ;   in Loop: Header=BB4_447 Depth=3
	s_or_b32 exec_lo, exec_lo, s43
	s_trap 2
	ds_load_b64 v[100:101], v0
	s_wait_dscnt 0x0
	v_add_nc_u64_e32 v[10:11], v[10:11], v[36:37]
	s_mov_b32 s43, exec_lo
	s_delay_alu instid0(VALU_DEP_1)
	v_cmpx_lt_u64_e64 v[100:101], v[10:11]
	s_cbranch_execz .LBB4_504
; %bb.496:                              ;   in Loop: Header=BB4_447 Depth=3
	s_mov_b32 s44, 0
	s_mov_b32 s47, 0
                                        ; implicit-def: $sgpr45
                                        ; implicit-def: $sgpr46
	s_branch .LBB4_498
.LBB4_497:                              ;   in Loop: Header=BB4_498 Depth=4
	s_or_b32 exec_lo, exec_lo, s57
	s_delay_alu instid0(SALU_CYCLE_1) | instskip(NEXT) | instid1(SALU_CYCLE_1)
	s_and_b32 s56, exec_lo, s58
	s_or_b32 s44, s56, s44
	s_and_not1_b32 s45, s45, exec_lo
	s_and_b32 s56, s46, exec_lo
	s_delay_alu instid0(SALU_CYCLE_1)
	s_or_b32 s45, s45, s56
	s_and_not1_b32 exec_lo, exec_lo, s44
	s_cbranch_execz .LBB4_502
.LBB4_498:                              ;   Parent Loop BB4_53 Depth=1
                                        ;     Parent Loop BB4_89 Depth=2
                                        ;       Parent Loop BB4_447 Depth=3
                                        ; =>      This Inner Loop Header: Depth=4
	s_add_co_i32 s47, s47, 1
	s_delay_alu instid0(SALU_CYCLE_1) | instskip(SKIP_1) | instid1(SALU_CYCLE_1)
	s_cmp_lg_u32 s47, 0x2710
	s_cselect_b32 s56, -1, 0
	s_and_b32 vcc_lo, exec_lo, s56
	s_cbranch_vccz .LBB4_500
; %bb.499:                              ;   in Loop: Header=BB4_498 Depth=4
	s_mov_b32 s58, -1
	s_or_b32 s46, s46, exec_lo
	s_and_saveexec_b32 s57, s56
	s_cbranch_execz .LBB4_497
	s_branch .LBB4_501
.LBB4_500:                              ;   in Loop: Header=BB4_498 Depth=4
	s_trap 2
	ds_load_b64 v[100:101], v0
	s_and_not1_b32 s56, s56, exec_lo
	s_mov_b32 s47, 0
	s_wait_loadcnt_dscnt 0x0
	flat_load_b32 v34, v[100:101] scope:SCOPE_SYS
	s_wait_loadcnt_dscnt 0x0
	global_inv scope:SCOPE_SYS
	v_cmp_eq_u32_e32 vcc_lo, 0, v34
	s_and_b32 s57, vcc_lo, exec_lo
	s_delay_alu instid0(SALU_CYCLE_1)
	s_or_b32 s56, s56, s57
	s_mov_b32 s58, -1
	s_or_b32 s46, s46, exec_lo
	s_and_saveexec_b32 s57, s56
	s_cbranch_execz .LBB4_497
.LBB4_501:                              ;   in Loop: Header=BB4_498 Depth=4
	s_sleep 1
	s_trap 2
	ds_load_b64 v[100:101], v0
	s_wait_dscnt 0x0
	s_and_not1_b32 s46, s46, exec_lo
	v_cmp_ge_u64_e32 vcc_lo, v[100:101], v[10:11]
	s_or_not1_b32 s58, vcc_lo, exec_lo
	s_branch .LBB4_497
.LBB4_502:                              ;   in Loop: Header=BB4_447 Depth=3
	s_or_b32 exec_lo, exec_lo, s44
	s_and_saveexec_b32 s44, s45
	s_delay_alu instid0(SALU_CYCLE_1)
	s_xor_b32 s44, exec_lo, s44
	s_cbranch_execz .LBB4_504
; %bb.503:                              ;   in Loop: Header=BB4_447 Depth=3
	ds_store_b32 v0, v47
	s_trap 2
.LBB4_504:                              ;   in Loop: Header=BB4_447 Depth=3
	s_or_b32 exec_lo, exec_lo, s43
	;;#ASMSTART
	s_wakeup
	;;#ASMEND
.LBB4_505:                              ;   in Loop: Header=BB4_447 Depth=3
	s_or_b32 exec_lo, exec_lo, s42
.LBB4_506:                              ;   in Loop: Header=BB4_447 Depth=3
	s_and_not1_saveexec_b32 s41, s41
	s_cbranch_execz .LBB4_508
; %bb.507:                              ;   in Loop: Header=BB4_447 Depth=3
	global_wb scope:SCOPE_DEV
	s_wait_storecnt 0x0
	s_wait_loadcnt_dscnt 0x0
	global_inv scope:SCOPE_DEV
	s_barrier_signal -1
	s_barrier_wait -1
.LBB4_508:                              ;   in Loop: Header=BB4_447 Depth=3
	s_or_b32 exec_lo, exec_lo, s41
.LBB4_509:                              ;   in Loop: Header=BB4_447 Depth=3
	s_delay_alu instid0(SALU_CYCLE_1) | instskip(SKIP_3) | instid1(VALU_DEP_1)
	s_or_b32 exec_lo, exec_lo, s10
	s_trap 2
	ds_load_b64 v[100:101], v0
	v_sub_nc_u32_e32 v34, v116, v8
	v_min_i32_e32 v117, v117, v34
	s_wait_dscnt 0x0
	v_cmp_eq_u64_e32 vcc_lo, 0, v[100:101]
	s_cbranch_vccnz .LBB4_517
; %bb.510:                              ;   in Loop: Header=BB4_447 Depth=3
	s_trap 2
	ds_load_b64 v[102:103], v0
	s_wait_dscnt 0x0
	v_cmp_eq_u64_e32 vcc_lo, 0, v[102:103]
	s_cbranch_vccnz .LBB4_517
; %bb.511:                              ;   in Loop: Header=BB4_447 Depth=3
	s_mov_b32 s10, -1
	s_and_saveexec_b32 s41, s7
	s_cbranch_execz .LBB4_513
; %bb.512:                              ;   in Loop: Header=BB4_447 Depth=3
	ds_load_b32 v34, v0 offset:720
	s_wait_dscnt 0x0
	v_and_b32_e32 v34, 15, v34
	s_delay_alu instid0(VALU_DEP_1)
	v_cmp_eq_u32_e32 vcc_lo, 0, v34
	s_or_not1_b32 s10, vcc_lo, exec_lo
.LBB4_513:                              ;   in Loop: Header=BB4_447 Depth=3
	s_or_b32 exec_lo, exec_lo, s41
	s_and_saveexec_b32 s41, s6
	s_cbranch_execz .LBB4_515
; %bb.514:                              ;   in Loop: Header=BB4_447 Depth=3
	ds_load_b32 v34, v0 offset:784
	s_wait_dscnt 0x0
	v_and_b32_e32 v34, 15, v34
	s_delay_alu instid0(VALU_DEP_1) | instskip(SKIP_3) | instid1(SALU_CYCLE_1)
	v_cmp_eq_u32_e32 vcc_lo, 0, v34
	s_and_b32 s42, s10, vcc_lo
	s_and_not1_b32 s10, s10, exec_lo
	s_and_b32 s42, s42, exec_lo
	s_or_b32 s10, s10, s42
.LBB4_515:                              ;   in Loop: Header=BB4_447 Depth=3
	s_or_b32 exec_lo, exec_lo, s41
	v_cmp_eq_u32_e32 vcc_lo, 0, v9
	s_xor_b32 s10, s10, -1
	v_mov_b32_e32 v112, v66
	v_cndmask_b32_e64 v34, 0, 1, s10
	s_mov_b32 s42, -1
	v_dual_cndmask_b32 v9, 0, v117, vcc_lo :: v_dual_mov_b32 v115, v0
	s_delay_alu instid0(VALU_DEP_2) | instskip(NEXT) | instid1(VALU_DEP_2)
	v_cmp_ne_u32_e32 vcc_lo, 0, v34
	v_dual_mov_b32 v34, 0 :: v_dual_mov_b32 v114, v9
	s_cbranch_vccz .LBB4_518
; %bb.516:                              ;   in Loop: Header=BB4_447 Depth=3
	s_and_saveexec_b32 s10, s42
	s_cbranch_execnz .LBB4_531
	s_branch .LBB4_539
.LBB4_517:                              ;   in Loop: Header=BB4_447 Depth=3
	s_mov_b32 s10, 0
	s_and_saveexec_b32 s41, s1
	s_cbranch_execnz .LBB4_540
	s_branch .LBB4_558
.LBB4_518:                              ;   in Loop: Header=BB4_447 Depth=3
	v_ashrrev_i32_e32 v34, 31, v9
	s_mov_b32 s10, exec_lo
	s_delay_alu instid0(VALU_DEP_1) | instskip(NEXT) | instid1(VALU_DEP_1)
	v_lshrrev_b32_e32 v34, 21, v34
	v_add_nc_u32_e32 v34, v9, v34
	s_delay_alu instid0(VALU_DEP_1) | instskip(NEXT) | instid1(VALU_DEP_1)
	v_ashrrev_i32_e32 v34, 11, v34
	v_sub_nc_u32_e32 v119, v34, v66
	s_delay_alu instid0(VALU_DEP_1)
	v_cmpx_lt_i32_e32 0, v119
	s_cbranch_execz .LBB4_522
; %bb.519:                              ;   in Loop: Header=BB4_447 Depth=3
	v_mov_b64_e32 v[112:113], v[102:103]
	v_mov_b64_e32 v[114:115], v[100:101]
	s_mov_b32 s41, 0
.LBB4_520:                              ;   Parent Loop BB4_53 Depth=1
                                        ;     Parent Loop BB4_89 Depth=2
                                        ;       Parent Loop BB4_447 Depth=3
                                        ; =>      This Inner Loop Header: Depth=4
	s_delay_alu instid0(VALU_DEP_1)
	v_add_nc_u64_e32 v[44:45], v[68:69], v[114:115]
	v_sub_nc_u32_e32 v119, v119, v36
	v_add_nc_u64_e32 v[114:115], v[114:115], v[50:51]
	s_clause 0x3
	global_load_b128 v[40:43], v[44:45], off th:TH_LOAD_NT
	global_load_b128 v[58:61], v[44:45], off offset:512 th:TH_LOAD_NT
	global_load_b128 v[72:75], v[44:45], off offset:1024 th:TH_LOAD_NT
	;; [unrolled: 1-line block ×3, first 2 shown]
	s_wait_xcnt 0x0
	v_add_nc_u64_e32 v[44:45], v[68:69], v[112:113]
	v_cmp_gt_i32_e32 vcc_lo, 1, v119
	v_add_nc_u64_e32 v[112:113], v[112:113], v[50:51]
	s_wait_loadcnt 0x3
	global_store_b128 v[44:45], v[40:43], off th:TH_STORE_NT
	s_wait_loadcnt 0x2
	global_store_b128 v[44:45], v[58:61], off offset:512 th:TH_STORE_NT
	s_wait_loadcnt 0x1
	global_store_b128 v[44:45], v[72:75], off offset:1024 th:TH_STORE_NT
	;; [unrolled: 2-line block ×3, first 2 shown]
	s_or_b32 s41, vcc_lo, s41
	s_wait_xcnt 0x0
	s_and_not1_b32 exec_lo, exec_lo, s41
	s_cbranch_execnz .LBB4_520
; %bb.521:                              ;   in Loop: Header=BB4_447 Depth=3
	s_or_b32 exec_lo, exec_lo, s41
.LBB4_522:                              ;   in Loop: Header=BB4_447 Depth=3
	s_delay_alu instid0(SALU_CYCLE_1) | instskip(SKIP_3) | instid1(VALU_DEP_1)
	s_or_b32 exec_lo, exec_lo, s10
	v_dual_lshlrev_b32 v118, 11, v34 :: v_dual_mov_b32 v34, 0
	s_mov_b32 s42, 0
	s_mov_b32 s41, exec_lo
                                        ; implicit-def: $vgpr114
                                        ; implicit-def: $vgpr115
                                        ; implicit-def: $vgpr112
	v_cmpx_ne_u32_e64 v9, v118
	s_cbranch_execz .LBB4_530
; %bb.523:                              ;   in Loop: Header=BB4_447 Depth=3
	v_dual_lshlrev_b32 v34, 5, v119 :: v_dual_sub_nc_u32 v113, v9, v118
	s_mov_b32 s42, exec_lo
	s_delay_alu instid0(VALU_DEP_1) | instskip(NEXT) | instid1(VALU_DEP_1)
	v_dual_sub_nc_u32 v34, v56, v34 :: v_dual_ashrrev_i32 v114, 31, v113
	v_ashrrev_i32_e32 v112, 31, v34
	s_delay_alu instid0(VALU_DEP_1) | instskip(NEXT) | instid1(VALU_DEP_1)
	v_dual_lshrrev_b32 v114, 23, v114 :: v_dual_lshrrev_b32 v112, 27, v112
	v_add_nc_u32_e32 v112, v34, v112
	s_delay_alu instid0(VALU_DEP_1) | instskip(NEXT) | instid1(VALU_DEP_1)
	v_and_b32_e32 v115, 0xffffffe0, v112
	v_dual_add_nc_u32 v114, v113, v114 :: v_dual_sub_nc_u32 v40, v34, v115
	s_delay_alu instid0(VALU_DEP_1) | instskip(SKIP_1) | instid1(VALU_DEP_2)
	v_and_b32_e32 v119, 0xfffffe00, v114
	v_dual_ashrrev_i32 v115, 5, v112 :: v_dual_ashrrev_i32 v114, 9, v114
	v_dual_lshlrev_b32 v34, 4, v40 :: v_dual_sub_nc_u32 v41, v113, v119
	s_delay_alu instid0(VALU_DEP_1) | instskip(NEXT) | instid1(VALU_DEP_2)
	v_lshl_add_u32 v112, v115, 9, v34
	v_cmp_lt_i32_e32 vcc_lo, 15, v41
	s_delay_alu instid0(VALU_DEP_4) | instskip(NEXT) | instid1(VALU_DEP_1)
	v_add_co_ci_u32_e64 v114, null, 0, v114, vcc_lo
	v_dual_sub_nc_u32 v34, v113, v112 :: v_dual_sub_nc_u32 v42, v114, v115
	s_delay_alu instid0(VALU_DEP_1)
	v_cmpx_lt_i32_e32 15, v34
	s_cbranch_execz .LBB4_527
; %bb.524:                              ;   in Loop: Header=BB4_447 Depth=3
	v_add_nc_u32_e32 v112, v112, v118
	s_mov_b32 s43, 0
	s_delay_alu instid0(VALU_DEP_1)
	v_ashrrev_i32_e32 v113, 31, v112
.LBB4_525:                              ;   Parent Loop BB4_53 Depth=1
                                        ;     Parent Loop BB4_89 Depth=2
                                        ;       Parent Loop BB4_447 Depth=3
                                        ; =>      This Inner Loop Header: Depth=4
	s_delay_alu instid0(VALU_DEP_1) | instskip(SKIP_2) | instid1(VALU_DEP_2)
	v_add_nc_u64_e32 v[114:115], v[100:101], v[112:113]
	v_sub_nc_u32_e32 v34, v34, v52
	v_sub_nc_u32_e32 v42, v42, v36
	v_cmp_gt_i32_e64 s10, 16, v34
	global_load_b128 v[58:61], v[114:115], off th:TH_LOAD_NT
	s_wait_xcnt 0x0
	v_add_nc_u64_e32 v[114:115], v[102:103], v[112:113]
	v_add_nc_u64_e32 v[112:113], v[112:113], v[52:53]
	s_or_b32 s43, s10, s43
	s_wait_loadcnt 0x0
	global_store_b128 v[114:115], v[58:61], off th:TH_STORE_NT
	s_wait_xcnt 0x0
	s_and_not1_b32 exec_lo, exec_lo, s43
	s_cbranch_execnz .LBB4_525
; %bb.526:                              ;   in Loop: Header=BB4_447 Depth=3
	s_or_b32 exec_lo, exec_lo, s43
.LBB4_527:                              ;   in Loop: Header=BB4_447 Depth=3
	s_delay_alu instid0(SALU_CYCLE_1) | instskip(SKIP_3) | instid1(VALU_DEP_1)
	s_or_b32 exec_lo, exec_lo, s42
	v_dual_mov_b32 v34, 0 :: v_dual_bitop2_b32 v113, 15, v9 bitop3:0x40
	s_mov_b32 s42, 0
	s_mov_b32 s43, exec_lo
                                        ; implicit-def: $vgpr115
                                        ; implicit-def: $vgpr112
	v_cndmask_b32_e32 v114, v41, v113, vcc_lo
	s_delay_alu instid0(VALU_DEP_1)
	v_cmpx_ne_u32_e32 0, v114
	s_cbranch_execz .LBB4_529
; %bb.528:                              ;   in Loop: Header=BB4_447 Depth=3
	v_cmp_lt_i32_e64 s10, 0, v42
	s_mov_b32 s42, exec_lo
	v_dual_sub_nc_u32 v112, v41, v113 :: v_dual_cndmask_b32 v34, 0, v36, s10
	s_delay_alu instid0(VALU_DEP_1) | instskip(NEXT) | instid1(VALU_DEP_1)
	v_dual_cndmask_b32 v112, 0, v112, vcc_lo :: v_dual_sub_nc_u32 v34, v34, v42
	v_lshl_add_u32 v115, v34, 5, v40
	s_delay_alu instid0(VALU_DEP_1) | instskip(NEXT) | instid1(VALU_DEP_1)
	v_ashrrev_i32_e32 v34, 31, v115
	v_lshrrev_b32_e32 v34, 27, v34
	s_delay_alu instid0(VALU_DEP_1) | instskip(SKIP_1) | instid1(VALU_DEP_2)
	v_add_nc_u32_e32 v113, v115, v34
	v_add3_u32 v34, v119, v118, v112
	v_ashrrev_i32_e32 v112, 5, v113
.LBB4_529:                              ;   in Loop: Header=BB4_447 Depth=3
	s_or_b32 exec_lo, exec_lo, s43
	s_delay_alu instid0(SALU_CYCLE_1)
	s_and_b32 s42, s42, exec_lo
.LBB4_530:                              ;   in Loop: Header=BB4_447 Depth=3
	s_or_b32 exec_lo, exec_lo, s41
	s_and_saveexec_b32 s10, s42
	s_cbranch_execz .LBB4_539
.LBB4_531:                              ;   in Loop: Header=BB4_447 Depth=3
	v_ashrrev_i32_e32 v113, 31, v114
	s_mov_b32 s41, exec_lo
	s_delay_alu instid0(VALU_DEP_1) | instskip(NEXT) | instid1(VALU_DEP_1)
	v_lshrrev_b32_e32 v113, 23, v113
	v_add_nc_u32_e32 v113, v114, v113
	s_delay_alu instid0(VALU_DEP_1) | instskip(NEXT) | instid1(VALU_DEP_1)
	v_dual_ashrrev_i32 v40, 9, v113 :: v_dual_ashrrev_i32 v113, 31, v115
	v_dual_sub_nc_u32 v118, v40, v112 :: v_dual_lshrrev_b32 v119, 27, v113
	s_delay_alu instid0(VALU_DEP_1)
	v_cmpx_lt_i32_e32 0, v118
	s_cbranch_execz .LBB4_535
; %bb.532:                              ;   in Loop: Header=BB4_447 Depth=3
	s_delay_alu instid0(VALU_DEP_2) | instskip(SKIP_1) | instid1(VALU_DEP_1)
	v_dual_add_nc_u32 v113, v115, v119 :: v_dual_lshlrev_b32 v112, 9, v112
	s_mov_b32 s42, 0
	v_and_b32_e32 v113, 0xffffffe0, v113
	s_delay_alu instid0(VALU_DEP_1) | instskip(NEXT) | instid1(VALU_DEP_1)
	v_sub_nc_u32_e32 v113, v115, v113
	v_add3_u32 v112, v34, v113, v112
	s_delay_alu instid0(VALU_DEP_1)
	v_ashrrev_i32_e32 v113, 31, v112
.LBB4_533:                              ;   Parent Loop BB4_53 Depth=1
                                        ;     Parent Loop BB4_89 Depth=2
                                        ;       Parent Loop BB4_447 Depth=3
                                        ; =>      This Inner Loop Header: Depth=4
	s_delay_alu instid0(VALU_DEP_1)
	v_add_nc_u64_e32 v[42:43], v[112:113], v[100:101]
	v_sub_nc_u32_e32 v118, v118, v36
	v_add_nc_u64_e32 v[100:101], v[100:101], v[52:53]
	s_clause 0xf
	flat_load_u8 v41, v[42:43] th:TH_LOAD_NT
	flat_load_u8 v44, v[42:43] offset:32 th:TH_LOAD_NT
	flat_load_u8 v45, v[42:43] offset:64 th:TH_LOAD_NT
	;; [unrolled: 1-line block ×15, first 2 shown]
	s_wait_xcnt 0x0
	v_add_nc_u64_e32 v[42:43], v[112:113], v[102:103]
	v_add_nc_u64_e32 v[102:103], v[102:103], v[52:53]
	v_cmp_gt_i32_e32 vcc_lo, 1, v118
	s_wait_loadcnt_dscnt 0xf0f
	flat_store_b8 v[42:43], v41 th:TH_STORE_NT
	s_wait_loadcnt_dscnt 0xe0f
	flat_store_b8 v[42:43], v44 offset:32 th:TH_STORE_NT
	s_wait_loadcnt_dscnt 0xd0f
	flat_store_b8 v[42:43], v45 offset:64 th:TH_STORE_NT
	s_wait_loadcnt_dscnt 0xc0f
	flat_store_b8 v[42:43], v58 offset:96 th:TH_STORE_NT
	s_wait_loadcnt_dscnt 0xb0f
	flat_store_b8 v[42:43], v59 offset:128 th:TH_STORE_NT
	s_wait_loadcnt_dscnt 0xa0f
	flat_store_b8 v[42:43], v60 offset:160 th:TH_STORE_NT
	s_wait_loadcnt_dscnt 0x90f
	flat_store_b8 v[42:43], v61 offset:192 th:TH_STORE_NT
	s_wait_loadcnt_dscnt 0x80f
	flat_store_b8 v[42:43], v62 offset:224 th:TH_STORE_NT
	s_wait_loadcnt_dscnt 0x70f
	flat_store_b8 v[42:43], v63 offset:256 th:TH_STORE_NT
	s_wait_loadcnt_dscnt 0x60f
	flat_store_b8 v[42:43], v72 offset:288 th:TH_STORE_NT
	s_wait_loadcnt_dscnt 0x50f
	flat_store_b8 v[42:43], v73 offset:320 th:TH_STORE_NT
	s_wait_loadcnt_dscnt 0x40f
	flat_store_b8 v[42:43], v74 offset:352 th:TH_STORE_NT
	s_wait_loadcnt_dscnt 0x30f
	flat_store_b8 v[42:43], v75 offset:384 th:TH_STORE_NT
	s_wait_loadcnt_dscnt 0x20f
	flat_store_b8 v[42:43], v76 offset:416 th:TH_STORE_NT
	s_wait_loadcnt_dscnt 0x10f
	flat_store_b8 v[42:43], v77 offset:448 th:TH_STORE_NT
	s_wait_loadcnt_dscnt 0xf
	flat_store_b8 v[42:43], v78 offset:480 th:TH_STORE_NT
	s_or_b32 s42, vcc_lo, s42
	s_wait_xcnt 0x0
	s_and_not1_b32 exec_lo, exec_lo, s42
	s_cbranch_execnz .LBB4_533
; %bb.534:                              ;   in Loop: Header=BB4_447 Depth=3
	s_or_b32 exec_lo, exec_lo, s42
.LBB4_535:                              ;   in Loop: Header=BB4_447 Depth=3
	s_delay_alu instid0(SALU_CYCLE_1) | instskip(SKIP_1) | instid1(VALU_DEP_1)
	s_or_b32 exec_lo, exec_lo, s41
	v_lshlrev_b32_e32 v100, 9, v40
	v_cmp_ne_u32_e32 vcc_lo, v114, v100
	s_and_b32 exec_lo, exec_lo, vcc_lo
	s_cbranch_execz .LBB4_539
; %bb.536:                              ;   in Loop: Header=BB4_447 Depth=3
	v_dual_add_nc_u32 v101, v115, v119 :: v_dual_lshlrev_b32 v102, 5, v118
	s_delay_alu instid0(VALU_DEP_1) | instskip(NEXT) | instid1(VALU_DEP_1)
	v_and_b32_e32 v101, 0xffffffe0, v101
	v_sub_nc_u32_e32 v101, v115, v101
	s_delay_alu instid0(VALU_DEP_1) | instskip(NEXT) | instid1(VALU_DEP_1)
	v_sub_nc_u32_e32 v101, v101, v102
	v_add_nc_u32_e32 v102, v100, v101
	s_delay_alu instid0(VALU_DEP_1) | instskip(NEXT) | instid1(VALU_DEP_1)
	v_sub_nc_u32_e32 v112, v114, v102
	v_cmp_lt_i32_e32 vcc_lo, 0, v112
	s_and_b32 exec_lo, exec_lo, vcc_lo
	s_cbranch_execz .LBB4_539
; %bb.537:                              ;   in Loop: Header=BB4_447 Depth=3
	s_trap 2
	ds_load_b64 v[100:101], v0
	v_add_nc_u32_e32 v102, v102, v34
	s_mov_b32 s41, 0
	s_delay_alu instid0(VALU_DEP_1)
	v_ashrrev_i32_e32 v103, 31, v102
.LBB4_538:                              ;   Parent Loop BB4_53 Depth=1
                                        ;     Parent Loop BB4_89 Depth=2
                                        ;       Parent Loop BB4_447 Depth=3
                                        ; =>      This Inner Loop Header: Depth=4
	s_wait_dscnt 0x0
	s_delay_alu instid0(VALU_DEP_1) | instskip(SKIP_2) | instid1(VALU_DEP_2)
	v_add_nc_u64_e32 v[114:115], v[100:101], v[102:103]
	v_sub_nc_u32_e32 v112, v112, v38
	v_add_nc_u64_e32 v[102:103], v[102:103], v[38:39]
	v_cmp_gt_i32_e32 vcc_lo, 1, v112
	flat_load_u8 v34, v[114:115] th:TH_LOAD_NT
	s_or_b32 s41, vcc_lo, s41
	s_wait_loadcnt_dscnt 0x0
	flat_store_b8 v[114:115], v34 th:TH_STORE_NT
	s_wait_xcnt 0x0
	s_and_not1_b32 exec_lo, exec_lo, s41
	s_cbranch_execnz .LBB4_538
.LBB4_539:                              ;   in Loop: Header=BB4_447 Depth=3
	s_or_b32 exec_lo, exec_lo, s10
	v_cmp_lt_i32_e64 s10, 0, v9
	s_and_saveexec_b32 s41, s1
	s_cbranch_execz .LBB4_558
.LBB4_540:                              ;   in Loop: Header=BB4_447 Depth=3
	s_and_saveexec_b32 s42, s2
	s_delay_alu instid0(SALU_CYCLE_1)
	s_xor_b32 s42, exec_lo, s42
	s_cbranch_execz .LBB4_555
; %bb.541:                              ;   in Loop: Header=BB4_447 Depth=3
	s_and_saveexec_b32 s43, s5
	s_cbranch_execz .LBB4_554
; %bb.542:                              ;   in Loop: Header=BB4_447 Depth=3
	s_mov_b32 s45, exec_lo
	s_mov_b32 s44, exec_lo
	v_mbcnt_lo_u32_b32 v9, s45, 0
	global_wb scope:SCOPE_DEV
	s_wait_storecnt 0x0
	s_wait_loadcnt_dscnt 0x0
	global_inv scope:SCOPE_DEV
	v_cmpx_eq_u32_e32 0, v9
	s_cbranch_execz .LBB4_544
; %bb.543:                              ;   in Loop: Header=BB4_447 Depth=3
	s_bcnt1_i32_b32 s45, s45
	s_delay_alu instid0(SALU_CYCLE_1)
	v_mov_b32_e32 v34, s45
	s_wait_loadcnt 0x0
	ds_add_u64 v0, v[34:35]
	s_trap 2
.LBB4_544:                              ;   in Loop: Header=BB4_447 Depth=3
	s_or_b32 exec_lo, exec_lo, s44
	s_trap 2
	ds_load_b64 v[100:101], v0
	s_wait_dscnt 0x0
	v_add_nc_u64_e32 v[10:11], v[10:11], v[36:37]
	s_mov_b32 s44, exec_lo
	s_delay_alu instid0(VALU_DEP_1)
	v_cmpx_lt_u64_e64 v[100:101], v[10:11]
	s_cbranch_execz .LBB4_553
; %bb.545:                              ;   in Loop: Header=BB4_447 Depth=3
	s_mov_b32 s45, 0
	s_mov_b32 s56, 0
                                        ; implicit-def: $sgpr46
                                        ; implicit-def: $sgpr47
	s_branch .LBB4_547
.LBB4_546:                              ;   in Loop: Header=BB4_547 Depth=4
	s_or_b32 exec_lo, exec_lo, s58
	s_delay_alu instid0(SALU_CYCLE_1) | instskip(NEXT) | instid1(SALU_CYCLE_1)
	s_and_b32 s57, exec_lo, s59
	s_or_b32 s45, s57, s45
	s_and_not1_b32 s46, s46, exec_lo
	s_and_b32 s57, s47, exec_lo
	s_delay_alu instid0(SALU_CYCLE_1)
	s_or_b32 s46, s46, s57
	s_and_not1_b32 exec_lo, exec_lo, s45
	s_cbranch_execz .LBB4_551
.LBB4_547:                              ;   Parent Loop BB4_53 Depth=1
                                        ;     Parent Loop BB4_89 Depth=2
                                        ;       Parent Loop BB4_447 Depth=3
                                        ; =>      This Inner Loop Header: Depth=4
	s_add_co_i32 s56, s56, 1
	s_delay_alu instid0(SALU_CYCLE_1) | instskip(SKIP_1) | instid1(SALU_CYCLE_1)
	s_cmp_lg_u32 s56, 0x2710
	s_cselect_b32 s57, -1, 0
	s_and_b32 vcc_lo, exec_lo, s57
	s_cbranch_vccz .LBB4_549
; %bb.548:                              ;   in Loop: Header=BB4_547 Depth=4
	s_mov_b32 s59, -1
	s_or_b32 s47, s47, exec_lo
	s_and_saveexec_b32 s58, s57
	s_cbranch_execz .LBB4_546
	s_branch .LBB4_550
.LBB4_549:                              ;   in Loop: Header=BB4_547 Depth=4
	s_trap 2
	ds_load_b64 v[100:101], v0
	s_and_not1_b32 s57, s57, exec_lo
	s_mov_b32 s56, 0
	s_wait_loadcnt_dscnt 0x0
	flat_load_b32 v9, v[100:101] scope:SCOPE_SYS
	s_wait_loadcnt_dscnt 0x0
	global_inv scope:SCOPE_SYS
	v_cmp_eq_u32_e32 vcc_lo, 0, v9
	s_and_b32 s58, vcc_lo, exec_lo
	s_delay_alu instid0(SALU_CYCLE_1)
	s_or_b32 s57, s57, s58
	s_mov_b32 s59, -1
	s_or_b32 s47, s47, exec_lo
	s_and_saveexec_b32 s58, s57
	s_cbranch_execz .LBB4_546
.LBB4_550:                              ;   in Loop: Header=BB4_547 Depth=4
	s_sleep 1
	s_trap 2
	ds_load_b64 v[100:101], v0
	s_wait_dscnt 0x0
	s_and_not1_b32 s47, s47, exec_lo
	v_cmp_ge_u64_e32 vcc_lo, v[100:101], v[10:11]
	s_or_not1_b32 s59, vcc_lo, exec_lo
	s_branch .LBB4_546
.LBB4_551:                              ;   in Loop: Header=BB4_447 Depth=3
	s_or_b32 exec_lo, exec_lo, s45
	s_and_saveexec_b32 s45, s46
	s_delay_alu instid0(SALU_CYCLE_1)
	s_xor_b32 s45, exec_lo, s45
	s_cbranch_execz .LBB4_553
; %bb.552:                              ;   in Loop: Header=BB4_447 Depth=3
	ds_store_b32 v0, v47
	s_trap 2
.LBB4_553:                              ;   in Loop: Header=BB4_447 Depth=3
	s_or_b32 exec_lo, exec_lo, s44
	;;#ASMSTART
	s_wakeup
	;;#ASMEND
.LBB4_554:                              ;   in Loop: Header=BB4_447 Depth=3
	s_or_b32 exec_lo, exec_lo, s43
.LBB4_555:                              ;   in Loop: Header=BB4_447 Depth=3
	s_and_not1_saveexec_b32 s42, s42
	s_cbranch_execz .LBB4_557
; %bb.556:                              ;   in Loop: Header=BB4_447 Depth=3
	global_wb scope:SCOPE_DEV
	s_wait_storecnt 0x0
	s_wait_loadcnt_dscnt 0x0
	global_inv scope:SCOPE_DEV
	s_barrier_signal -1
	s_barrier_wait -1
.LBB4_557:                              ;   in Loop: Header=BB4_447 Depth=3
	s_or_b32 exec_lo, exec_lo, s42
.LBB4_558:                              ;   in Loop: Header=BB4_447 Depth=3
	s_delay_alu instid0(SALU_CYCLE_1) | instskip(SKIP_1) | instid1(VALU_DEP_1)
	s_or_b32 exec_lo, exec_lo, s41
	v_and_b32_e32 v9, 16, v80
	v_cmp_ne_u32_e32 vcc_lo, 0, v9
	s_and_b32 s41, vcc_lo, s10
	s_delay_alu instid0(SALU_CYCLE_1)
	s_and_saveexec_b32 s10, s41
	s_cbranch_execz .LBB4_560
; %bb.559:                              ;   in Loop: Header=BB4_447 Depth=3
	global_wb scope:SCOPE_SYS
	s_wait_storecnt 0x0
	s_wait_loadcnt_dscnt 0x0
	global_inv scope:SCOPE_SYS
.LBB4_560:                              ;   in Loop: Header=BB4_447 Depth=3
	s_or_b32 exec_lo, exec_lo, s10
	v_and_b32_e32 v9, 32, v80
	s_mov_b32 s10, exec_lo
	s_delay_alu instid0(VALU_DEP_1)
	v_cmpx_ne_u32_e32 0, v9
	s_cbranch_execz .LBB4_446
; %bb.561:                              ;   in Loop: Header=BB4_447 Depth=3
	v_add_nc_u64_e32 v[82:83], 2, v[82:83]
	global_wb scope:SCOPE_SYS
	s_wait_storecnt 0x0
	s_wait_loadcnt_dscnt 0x0
	flat_store_b64 v[18:19], v[82:83] scope:SCOPE_SYS
	s_branch .LBB4_446
.LBB4_562:                              ;   in Loop: Header=BB4_89 Depth=2
	s_or_b32 exec_lo, exec_lo, s28
.LBB4_563:                              ;   in Loop: Header=BB4_89 Depth=2
	s_delay_alu instid0(SALU_CYCLE_1) | instskip(NEXT) | instid1(SALU_CYCLE_1)
	s_or_b32 exec_lo, exec_lo, s27
	s_mov_b32 s27, exec_lo
	v_cmpx_gt_i32_e32 2, v9
	s_cbranch_execz .LBB4_88
; %bb.564:                              ;   in Loop: Header=BB4_89 Depth=2
	v_cmp_eq_u32_e64 s29, 0, v9
	s_mov_b32 s28, 0
	s_branch .LBB4_566
.LBB4_565:                              ;   in Loop: Header=BB4_566 Depth=3
	s_wait_xcnt 0x0
	s_or_b32 exec_lo, exec_lo, s10
	v_add_nc_u32_e32 v8, v117, v8
	s_mov_b32 s29, 0
	s_and_not1_b32 exec_lo, exec_lo, s28
	s_cbranch_execz .LBB4_87
.LBB4_566:                              ;   Parent Loop BB4_53 Depth=1
                                        ;     Parent Loop BB4_89 Depth=2
                                        ; =>    This Loop Header: Depth=3
                                        ;         Child Loop BB4_572 Depth 4
                                        ;         Child Loop BB4_596 Depth 4
	v_and_b32_e32 v9, 4, v80
	s_mov_b32 s40, exec_lo
	s_delay_alu instid0(VALU_DEP_1)
	v_cmpx_ne_u32_e32 0, v9
	s_cbranch_execz .LBB4_588
; %bb.567:                              ;   in Loop: Header=BB4_566 Depth=3
	v_add_nc_u64_e32 v[98:99], 2, v[82:83]
	s_mov_b32 s41, exec_lo
	s_wait_loadcnt 0x0
	s_delay_alu instid0(VALU_DEP_1)
	v_cmpx_lt_u64_e64 v[26:27], v[98:99]
	s_cbranch_execz .LBB4_579
; %bb.568:                              ;   in Loop: Header=BB4_566 Depth=3
	v_and_b32_e32 v9, 64, v80
	s_mov_b32 s42, 0
	s_mov_b32 s46, 0
                                        ; implicit-def: $sgpr43
                                        ; implicit-def: $sgpr44
                                        ; implicit-def: $sgpr45
	s_delay_alu instid0(VALU_DEP_1)
	v_cmp_eq_u32_e32 vcc_lo, 0, v9
	s_branch .LBB4_572
.LBB4_569:                              ;   in Loop: Header=BB4_572 Depth=4
	s_wait_loadcnt_dscnt 0x0
	v_cmp_ge_u64_e64 s10, v[26:27], v[98:99]
	s_or_b32 s57, s57, exec_lo
	s_or_not1_b32 s56, s10, exec_lo
.LBB4_570:                              ;   in Loop: Header=BB4_572 Depth=4
	s_or_b32 exec_lo, exec_lo, s59
	s_delay_alu instid0(SALU_CYCLE_1)
	s_and_not1_b32 s10, s45, exec_lo
	s_and_b32 s45, s57, exec_lo
	s_and_not1_b32 s44, s44, exec_lo
	s_and_b32 s56, s56, exec_lo
	s_or_b32 s45, s10, s45
	s_or_b32 s44, s44, s56
.LBB4_571:                              ;   in Loop: Header=BB4_572 Depth=4
	s_or_b32 exec_lo, exec_lo, s47
	s_delay_alu instid0(SALU_CYCLE_1) | instskip(NEXT) | instid1(SALU_CYCLE_1)
	s_and_b32 s10, exec_lo, s44
	s_or_b32 s42, s10, s42
	s_and_not1_b32 s10, s43, exec_lo
	s_and_b32 s43, s45, exec_lo
	s_delay_alu instid0(SALU_CYCLE_1)
	s_or_b32 s43, s10, s43
	s_and_not1_b32 exec_lo, exec_lo, s42
	s_cbranch_execz .LBB4_576
.LBB4_572:                              ;   Parent Loop BB4_53 Depth=1
                                        ;     Parent Loop BB4_89 Depth=2
                                        ;       Parent Loop BB4_566 Depth=3
                                        ; =>      This Inner Loop Header: Depth=4
	s_sleep 1
	s_wait_loadcnt_dscnt 0x0
	flat_load_b64 v[26:27], v[18:19] scope:SCOPE_SYS
	s_or_b32 s45, s45, exec_lo
	s_or_b32 s44, s44, exec_lo
                                        ; implicit-def: $vgpr9
	s_wait_xcnt 0x0
	s_and_saveexec_b32 s47, vcc_lo
	s_cbranch_execz .LBB4_571
; %bb.573:                              ;   in Loop: Header=BB4_572 Depth=4
	s_cmp_lt_i32 s46, 0x270f
	s_mov_b32 s56, -1
	s_cselect_b32 s58, -1, 0
	s_cmp_gt_i32 s46, 0x270e
	s_cbranch_scc0 .LBB4_575
; %bb.574:                              ;   in Loop: Header=BB4_572 Depth=4
	s_trap 2
	ds_load_b64 v[100:101], v0
	s_and_not1_b32 s46, s58, exec_lo
	s_mov_b32 s57, 0
	s_wait_storecnt 0x0
	s_wait_loadcnt_dscnt 0x0
	flat_load_b32 v9, v[100:101] scope:SCOPE_SYS
	s_wait_loadcnt_dscnt 0x0
	global_inv scope:SCOPE_SYS
	v_cmp_eq_u32_e64 s10, 0, v9
	s_and_b32 s10, s10, exec_lo
	s_delay_alu instid0(SALU_CYCLE_1)
	s_or_b32 s58, s46, s10
	s_mov_b32 s46, 0
	s_and_saveexec_b32 s59, s58
	s_cbranch_execz .LBB4_570
	s_branch .LBB4_569
.LBB4_575:                              ;   in Loop: Header=BB4_572 Depth=4
	s_add_co_i32 s46, s46, 1
	s_mov_b32 s57, -1
                                        ; implicit-def: $vgpr9
	s_and_saveexec_b32 s59, s58
	s_cbranch_execz .LBB4_570
	s_branch .LBB4_569
.LBB4_576:                              ;   in Loop: Header=BB4_566 Depth=3
	s_or_b32 exec_lo, exec_lo, s42
	s_xor_b32 s10, s43, -1
	s_delay_alu instid0(SALU_CYCLE_1) | instskip(NEXT) | instid1(SALU_CYCLE_1)
	s_and_saveexec_b32 s42, s10
	s_xor_b32 s10, exec_lo, s42
	s_cbranch_execz .LBB4_578
; %bb.577:                              ;   in Loop: Header=BB4_566 Depth=3
	v_or_b32_e32 v80, 64, v80
	s_wait_storecnt 0x0
	s_wait_loadcnt_dscnt 0x0
	ds_store_b32 v0, v9
	s_trap 2
.LBB4_578:                              ;   in Loop: Header=BB4_566 Depth=3
	s_or_b32 exec_lo, exec_lo, s10
.LBB4_579:                              ;   in Loop: Header=BB4_566 Depth=3
	s_delay_alu instid0(SALU_CYCLE_1)
	s_or_b32 exec_lo, exec_lo, s41
	v_and_b32_e32 v9, 0x100, v80
	v_and_b32_e32 v34, 7, v82
	s_mov_b32 s10, -1
	s_mov_b32 s41, exec_lo
	;;#ASMSTART
	s_wakeup
	;;#ASMEND
                                        ; implicit-def: $vgpr82_vgpr83
	v_cmpx_ne_u32_e32 0, v9
	s_cbranch_execz .LBB4_583
; %bb.580:                              ;   in Loop: Header=BB4_566 Depth=3
	v_mad_nc_u64_u32 v[100:101], v34, 24, v[4:5]
	s_mov_b32 s42, exec_lo
                                        ; implicit-def: $vgpr82_vgpr83
	flat_load_b32 v9, v[100:101]
	s_wait_loadcnt_dscnt 0x0
	v_cmp_ne_u32_e32 vcc_lo, 1, v9
	s_wait_xcnt 0x0
	v_cmpx_eq_u32_e32 1, v9
	s_cbranch_execz .LBB4_582
; %bb.581:                              ;   in Loop: Header=BB4_566 Depth=3
	flat_load_b32 v82, v[100:101] offset:4 scope:SCOPE_SYS
	s_wait_loadcnt_dscnt 0x0
	v_ashrrev_i32_e32 v83, 31, v82
.LBB4_582:                              ;   in Loop: Header=BB4_566 Depth=3
	s_wait_xcnt 0x0
	s_or_b32 exec_lo, exec_lo, s42
	s_delay_alu instid0(SALU_CYCLE_1)
	s_or_not1_b32 s10, vcc_lo, exec_lo
.LBB4_583:                              ;   in Loop: Header=BB4_566 Depth=3
	s_or_b32 exec_lo, exec_lo, s41
	s_and_saveexec_b32 s41, s10
; %bb.584:                              ;   in Loop: Header=BB4_566 Depth=3
	v_mul_u64_e32 v[82:83], v[34:35], v[20:21]
; %bb.585:                              ;   in Loop: Header=BB4_566 Depth=3
	s_or_b32 exec_lo, exec_lo, s41
	s_delay_alu instid0(VALU_DEP_1)
	v_add_nc_u64_e32 v[82:83], v[22:23], v[82:83]
	v_and_b32_e32 v9, 0x2000, v80
	s_mov_b32 s10, exec_lo
	ds_store_b64 v0, v[82:83] offset:720
	v_cmpx_ne_u32_e32 0, v9
	s_cbranch_execz .LBB4_587
; %bb.586:                              ;   in Loop: Header=BB4_566 Depth=3
	ds_load_b64 v[82:83], v0 offset:872
	s_wait_dscnt 0x0
	v_add_nc_u64_e32 v[82:83], 1, v[82:83]
	ds_store_b64 v0, v[82:83] offset:872
.LBB4_587:                              ;   in Loop: Header=BB4_566 Depth=3
	s_or_b32 exec_lo, exec_lo, s10
	v_mov_b64_e32 v[82:83], v[98:99]
.LBB4_588:                              ;   in Loop: Header=BB4_566 Depth=3
	s_or_b32 exec_lo, exec_lo, s40
	s_xor_b32 s10, s29, -1
	s_delay_alu instid0(SALU_CYCLE_1) | instskip(NEXT) | instid1(SALU_CYCLE_1)
	s_and_b32 s10, exec_lo, s10
	s_or_b32 s28, s10, s28
	s_and_saveexec_b32 s10, s1
	s_cbranch_execz .LBB4_607
; %bb.589:                              ;   in Loop: Header=BB4_566 Depth=3
	s_and_saveexec_b32 s29, s2
	s_delay_alu instid0(SALU_CYCLE_1)
	s_xor_b32 s29, exec_lo, s29
	s_cbranch_execz .LBB4_604
; %bb.590:                              ;   in Loop: Header=BB4_566 Depth=3
	s_and_saveexec_b32 s40, s5
	s_cbranch_execz .LBB4_603
; %bb.591:                              ;   in Loop: Header=BB4_566 Depth=3
	s_mov_b32 s42, exec_lo
	s_mov_b32 s41, exec_lo
	v_mbcnt_lo_u32_b32 v9, s42, 0
	global_wb scope:SCOPE_DEV
	s_wait_storecnt 0x0
	s_wait_loadcnt_dscnt 0x0
	global_inv scope:SCOPE_DEV
	v_cmpx_eq_u32_e32 0, v9
	s_cbranch_execz .LBB4_593
; %bb.592:                              ;   in Loop: Header=BB4_566 Depth=3
	s_bcnt1_i32_b32 s42, s42
	s_delay_alu instid0(SALU_CYCLE_1)
	v_mov_b32_e32 v34, s42
	s_wait_loadcnt 0x0
	ds_add_u64 v0, v[34:35]
	s_trap 2
.LBB4_593:                              ;   in Loop: Header=BB4_566 Depth=3
	s_or_b32 exec_lo, exec_lo, s41
	s_trap 2
	ds_load_b64 v[98:99], v0
	s_wait_dscnt 0x0
	v_add_nc_u64_e32 v[10:11], v[10:11], v[36:37]
	s_mov_b32 s41, exec_lo
	s_delay_alu instid0(VALU_DEP_1)
	v_cmpx_lt_u64_e64 v[98:99], v[10:11]
	s_cbranch_execz .LBB4_602
; %bb.594:                              ;   in Loop: Header=BB4_566 Depth=3
	s_mov_b32 s42, 0
	s_mov_b32 s45, 0
                                        ; implicit-def: $sgpr43
                                        ; implicit-def: $sgpr44
	s_branch .LBB4_596
.LBB4_595:                              ;   in Loop: Header=BB4_596 Depth=4
	s_or_b32 exec_lo, exec_lo, s47
	s_delay_alu instid0(SALU_CYCLE_1) | instskip(NEXT) | instid1(SALU_CYCLE_1)
	s_and_b32 s46, exec_lo, s56
	s_or_b32 s42, s46, s42
	s_and_not1_b32 s43, s43, exec_lo
	s_and_b32 s46, s44, exec_lo
	s_delay_alu instid0(SALU_CYCLE_1)
	s_or_b32 s43, s43, s46
	s_and_not1_b32 exec_lo, exec_lo, s42
	s_cbranch_execz .LBB4_600
.LBB4_596:                              ;   Parent Loop BB4_53 Depth=1
                                        ;     Parent Loop BB4_89 Depth=2
                                        ;       Parent Loop BB4_566 Depth=3
                                        ; =>      This Inner Loop Header: Depth=4
	s_add_co_i32 s45, s45, 1
	s_delay_alu instid0(SALU_CYCLE_1) | instskip(SKIP_1) | instid1(SALU_CYCLE_1)
	s_cmp_lg_u32 s45, 0x2710
	s_cselect_b32 s46, -1, 0
	s_and_b32 vcc_lo, exec_lo, s46
	s_cbranch_vccz .LBB4_598
; %bb.597:                              ;   in Loop: Header=BB4_596 Depth=4
	s_mov_b32 s56, -1
	s_or_b32 s44, s44, exec_lo
	s_and_saveexec_b32 s47, s46
	s_cbranch_execz .LBB4_595
	s_branch .LBB4_599
.LBB4_598:                              ;   in Loop: Header=BB4_596 Depth=4
	s_trap 2
	ds_load_b64 v[98:99], v0
	s_and_not1_b32 s46, s46, exec_lo
	s_mov_b32 s45, 0
	s_wait_loadcnt_dscnt 0x0
	flat_load_b32 v9, v[98:99] scope:SCOPE_SYS
	s_wait_loadcnt_dscnt 0x0
	global_inv scope:SCOPE_SYS
	v_cmp_eq_u32_e32 vcc_lo, 0, v9
	s_and_b32 s47, vcc_lo, exec_lo
	s_delay_alu instid0(SALU_CYCLE_1)
	s_or_b32 s46, s46, s47
	s_mov_b32 s56, -1
	s_or_b32 s44, s44, exec_lo
	s_and_saveexec_b32 s47, s46
	s_cbranch_execz .LBB4_595
.LBB4_599:                              ;   in Loop: Header=BB4_596 Depth=4
	s_sleep 1
	s_trap 2
	ds_load_b64 v[98:99], v0
	s_wait_dscnt 0x0
	s_and_not1_b32 s44, s44, exec_lo
	v_cmp_ge_u64_e32 vcc_lo, v[98:99], v[10:11]
	s_or_not1_b32 s56, vcc_lo, exec_lo
	s_branch .LBB4_595
.LBB4_600:                              ;   in Loop: Header=BB4_566 Depth=3
	s_or_b32 exec_lo, exec_lo, s42
	s_and_saveexec_b32 s42, s43
	s_delay_alu instid0(SALU_CYCLE_1)
	s_xor_b32 s42, exec_lo, s42
	s_cbranch_execz .LBB4_602
; %bb.601:                              ;   in Loop: Header=BB4_566 Depth=3
	ds_store_b32 v0, v47
	s_trap 2
.LBB4_602:                              ;   in Loop: Header=BB4_566 Depth=3
	s_or_b32 exec_lo, exec_lo, s41
	;;#ASMSTART
	s_wakeup
	;;#ASMEND
.LBB4_603:                              ;   in Loop: Header=BB4_566 Depth=3
	s_or_b32 exec_lo, exec_lo, s40
.LBB4_604:                              ;   in Loop: Header=BB4_566 Depth=3
	s_and_not1_saveexec_b32 s29, s29
	s_cbranch_execz .LBB4_606
; %bb.605:                              ;   in Loop: Header=BB4_566 Depth=3
	global_wb scope:SCOPE_DEV
	s_wait_storecnt 0x0
	s_wait_loadcnt_dscnt 0x0
	global_inv scope:SCOPE_DEV
	s_barrier_signal -1
	s_barrier_wait -1
.LBB4_606:                              ;   in Loop: Header=BB4_566 Depth=3
	s_or_b32 exec_lo, exec_lo, s29
.LBB4_607:                              ;   in Loop: Header=BB4_566 Depth=3
	s_delay_alu instid0(SALU_CYCLE_1) | instskip(SKIP_3) | instid1(VALU_DEP_1)
	s_or_b32 exec_lo, exec_lo, s10
	s_trap 2
	ds_load_b32 v9, v0
	v_sub_nc_u32_e32 v34, v116, v8
	v_min_i32_e32 v117, v117, v34
	s_delay_alu instid0(VALU_DEP_1) | instskip(SKIP_4) | instid1(VALU_DEP_1)
	v_cmp_lt_i32_e32 vcc_lo, 0, v117
	s_wait_dscnt 0x0
	v_readfirstlane_b32 s10, v9
	v_and_b32_e32 v9, 16, v80
	s_cmp_eq_u32 s10, 0
	v_cmp_ne_u32_e64 s10, 0, v9
	s_cselect_b32 s29, -1, 0
	s_delay_alu instid0(SALU_CYCLE_1) | instskip(NEXT) | instid1(SALU_CYCLE_1)
	s_and_b32 s29, vcc_lo, s29
	s_and_b32 s29, s10, s29
	s_delay_alu instid0(SALU_CYCLE_1)
	s_and_saveexec_b32 s10, s29
	s_cbranch_execz .LBB4_609
; %bb.608:                              ;   in Loop: Header=BB4_566 Depth=3
	global_wb scope:SCOPE_SYS
	s_wait_loadcnt 0x0
	s_wait_storecnt 0x0
	global_inv scope:SCOPE_SYS
.LBB4_609:                              ;   in Loop: Header=BB4_566 Depth=3
	s_or_b32 exec_lo, exec_lo, s10
	v_and_b32_e32 v9, 32, v80
	s_mov_b32 s10, exec_lo
	s_delay_alu instid0(VALU_DEP_1)
	v_cmpx_ne_u32_e32 0, v9
	s_cbranch_execz .LBB4_565
; %bb.610:                              ;   in Loop: Header=BB4_566 Depth=3
	v_add_nc_u64_e32 v[82:83], 2, v[82:83]
	global_wb scope:SCOPE_SYS
	s_wait_loadcnt 0x0
	s_wait_storecnt 0x0
	flat_store_b64 v[18:19], v[82:83] scope:SCOPE_SYS
	s_branch .LBB4_565
.LBB4_611:                              ;   in Loop: Header=BB4_53 Depth=1
	s_or_b32 exec_lo, exec_lo, s25
.LBB4_612:                              ;   in Loop: Header=BB4_53 Depth=1
	s_delay_alu instid0(SALU_CYCLE_1)
	s_or_b32 exec_lo, exec_lo, s24
.LBB4_613:                              ;   in Loop: Header=BB4_53 Depth=1
	s_delay_alu instid0(SALU_CYCLE_1)
	s_or_b32 exec_lo, exec_lo, s12
	s_add_co_i32 s10, s23, 1
	s_add_co_i32 s18, s18, 1
	s_cmp_eq_u32 s23, s20
	s_cbranch_scc1 .LBB4_615
; %bb.614:                              ;   in Loop: Header=BB4_53 Depth=1
	s_mov_b32 s23, s10
	s_branch .LBB4_53
.LBB4_615:
	v_and_b32_e32 v0, 0x800, v80
	s_mov_b32 s1, exec_lo
	s_delay_alu instid0(VALU_DEP_1)
	v_cmpx_eq_u32_e32 0, v0
	s_cbranch_execz .LBB4_648
; %bb.616:
	v_and_b32_e32 v0, 48, v80
	s_mov_b32 s0, exec_lo
	s_delay_alu instid0(VALU_DEP_1)
	v_cmpx_ne_u32_e32 0, v0
	s_cbranch_execz .LBB4_618
; %bb.617:
	flat_store_b64 v[16:17], v[82:83] offset:104
.LBB4_618:
	s_wait_xcnt 0x0
	s_or_b32 exec_lo, exec_lo, s0
	v_and_b32_e32 v0, 0x88, v80
	s_mov_b32 s2, exec_lo
	s_delay_alu instid0(VALU_DEP_1)
	v_cmpx_eq_u32_e32 0x88, v0
	s_cbranch_execz .LBB4_628
; %bb.619:
	v_add_nc_u32_e32 v0, 6, v82
	s_mov_b32 s3, 0
	s_delay_alu instid0(VALU_DEP_1) | instskip(NEXT) | instid1(VALU_DEP_1)
	v_and_b32_e32 v0, 7, v0
	v_mad_nc_u64_u32 v[2:3], v0, 24, v[4:5]
	v_and_b32_e32 v0, 64, v80
	s_delay_alu instid0(VALU_DEP_1)
	v_cmp_eq_u32_e64 s0, 0, v0
	flat_load_b64 v[4:5], v[2:3] offset:8 scope:SCOPE_SYS
	s_wait_loadcnt_dscnt 0x0
	v_cmp_ne_u64_e32 vcc_lo, -1, v[4:5]
	s_and_b32 s0, vcc_lo, s0
	s_wait_xcnt 0x0
	s_and_b32 exec_lo, exec_lo, s0
	s_cbranch_execz .LBB4_628
; %bb.620:
	s_mov_b32 s5, 0
                                        ; implicit-def: $sgpr0
                                        ; implicit-def: $sgpr4
	s_branch .LBB4_623
.LBB4_621:                              ;   in Loop: Header=BB4_623 Depth=1
	flat_load_b64 v[4:5], v[2:3] offset:8 scope:SCOPE_SYS
	s_wait_loadcnt 0x0
	s_and_not1_b32 s4, s4, exec_lo
	s_wait_dscnt 0x0
	v_cmp_eq_u64_e32 vcc_lo, -1, v[4:5]
	s_or_not1_b32 s7, vcc_lo, exec_lo
.LBB4_622:                              ;   in Loop: Header=BB4_623 Depth=1
	s_wait_xcnt 0x0
	s_or_b32 exec_lo, exec_lo, s10
	s_delay_alu instid0(SALU_CYCLE_1) | instskip(NEXT) | instid1(SALU_CYCLE_1)
	s_and_b32 s6, exec_lo, s7
	s_or_b32 s3, s6, s3
	s_and_not1_b32 s0, s0, exec_lo
	s_and_b32 s6, s4, exec_lo
	s_delay_alu instid0(SALU_CYCLE_1)
	s_or_b32 s0, s0, s6
	s_and_not1_b32 exec_lo, exec_lo, s3
	s_cbranch_execz .LBB4_626
.LBB4_623:                              ; =>This Inner Loop Header: Depth=1
	s_cmp_lt_i32 s5, 0x270f
	s_cselect_b32 s6, -1, 0
	s_delay_alu instid0(SALU_CYCLE_1)
	s_and_b32 vcc_lo, exec_lo, s6
	s_cbranch_vccnz .LBB4_625
; %bb.624:                              ;   in Loop: Header=BB4_623 Depth=1
	s_trap 2
	ds_load_b64 v[4:5], v0
	s_and_not1_b32 s6, s6, exec_lo
	s_mov_b32 s5, 0
	s_wait_storecnt_dscnt 0x0
	flat_load_b32 v0, v[4:5] scope:SCOPE_SYS
	s_wait_loadcnt_dscnt 0x0
	global_inv scope:SCOPE_SYS
	v_cmp_eq_u32_e32 vcc_lo, 0, v0
	s_and_b32 s7, vcc_lo, exec_lo
	s_delay_alu instid0(SALU_CYCLE_1)
	s_or_b32 s6, s6, s7
	s_mov_b32 s7, -1
	s_or_b32 s4, s4, exec_lo
	s_wait_xcnt 0x0
	s_and_saveexec_b32 s10, s6
	s_cbranch_execz .LBB4_622
	s_branch .LBB4_621
.LBB4_625:                              ;   in Loop: Header=BB4_623 Depth=1
	s_add_co_i32 s5, s5, 1
                                        ; implicit-def: $vgpr0
	s_mov_b32 s7, -1
	s_or_b32 s4, s4, exec_lo
	s_and_saveexec_b32 s10, s6
	s_cbranch_execz .LBB4_622
	s_branch .LBB4_621
.LBB4_626:
	s_or_b32 exec_lo, exec_lo, s3
	s_and_saveexec_b32 s3, s0
	s_delay_alu instid0(SALU_CYCLE_1)
	s_xor_b32 s3, exec_lo, s3
	s_cbranch_execz .LBB4_628
; %bb.627:
	s_wait_loadcnt 0x0
	s_wait_storecnt 0x0
	ds_store_b32 v0, v0
	s_trap 2
.LBB4_628:
	s_or_b32 exec_lo, exec_lo, s2
	v_and_b32_e32 v0, 0x2000, v80
	s_mov_b32 s0, exec_lo
	s_delay_alu instid0(VALU_DEP_1)
	v_cmpx_ne_u32_e32 0, v0
	s_cbranch_execz .LBB4_630
; %bb.629:
	s_trap 2
	ds_load_b64 v[2:3], v0
	s_wait_dscnt 0x0
	flat_store_b64 v[14:15], v[2:3] offset:16
.LBB4_630:
	s_wait_xcnt 0x0
	s_or_b32 exec_lo, exec_lo, s0
	v_cmp_ne_u32_e32 vcc_lo, 32, v1
	s_and_b32 exec_lo, exec_lo, vcc_lo
	s_cbranch_execz .LBB4_648
; %bb.631:
	s_mov_b32 s0, exec_lo
	v_cmpx_ne_u32_e64 v1, v46
	s_xor_b32 s0, exec_lo, s0
	s_cbranch_execz .LBB4_646
; %bb.632:
	v_and_b32_e32 v0, 31, v31
	s_mov_b32 s2, exec_lo
	s_delay_alu instid0(VALU_DEP_1)
	v_cmpx_eq_u32_e32 0, v0
	s_cbranch_execz .LBB4_645
; %bb.633:
	s_mov_b32 s4, exec_lo
	s_mov_b32 s3, exec_lo
	v_mbcnt_lo_u32_b32 v0, s4, 0
	global_wb scope:SCOPE_DEV
	s_wait_storecnt 0x0
	s_wait_loadcnt_dscnt 0x0
	global_inv scope:SCOPE_DEV
	v_cmpx_eq_u32_e32 0, v0
	s_cbranch_execz .LBB4_635
; %bb.634:
	s_bcnt1_i32_b32 s4, s4
	s_delay_alu instid0(SALU_CYCLE_1)
	v_dual_mov_b32 v3, 0 :: v_dual_mov_b32 v2, s4
	s_wait_loadcnt 0x0
	ds_add_u64 v0, v[2:3]
	s_trap 2
.LBB4_635:
	s_or_b32 exec_lo, exec_lo, s3
	s_trap 2
	ds_load_b64 v[2:3], v0
	s_wait_dscnt 0x0
	v_dual_mov_b32 v1, 0 :: v_dual_lshrrev_b32 v0, 5, v1
	s_mov_b32 s3, exec_lo
	s_delay_alu instid0(VALU_DEP_1) | instskip(NEXT) | instid1(VALU_DEP_1)
	v_add_nc_u64_e32 v[0:1], v[10:11], v[0:1]
	v_cmpx_lt_u64_e64 v[2:3], v[0:1]
	s_cbranch_execz .LBB4_644
; %bb.636:
	s_mov_b32 s4, 0
	s_mov_b32 s7, 0
                                        ; implicit-def: $sgpr5
                                        ; implicit-def: $sgpr6
	s_branch .LBB4_638
.LBB4_637:                              ;   in Loop: Header=BB4_638 Depth=1
	s_or_b32 exec_lo, exec_lo, s11
	s_delay_alu instid0(SALU_CYCLE_1) | instskip(NEXT) | instid1(SALU_CYCLE_1)
	s_and_b32 s10, exec_lo, s12
	s_or_b32 s4, s10, s4
	s_and_not1_b32 s5, s5, exec_lo
	s_and_b32 s10, s6, exec_lo
	s_delay_alu instid0(SALU_CYCLE_1)
	s_or_b32 s5, s5, s10
	s_and_not1_b32 exec_lo, exec_lo, s4
	s_cbranch_execz .LBB4_642
.LBB4_638:                              ; =>This Inner Loop Header: Depth=1
	s_add_co_i32 s7, s7, 1
	s_delay_alu instid0(SALU_CYCLE_1) | instskip(SKIP_1) | instid1(SALU_CYCLE_1)
	s_cmp_lg_u32 s7, 0x2710
	s_cselect_b32 s10, -1, 0
	s_and_b32 vcc_lo, exec_lo, s10
	s_cbranch_vccz .LBB4_640
; %bb.639:                              ;   in Loop: Header=BB4_638 Depth=1
	s_mov_b32 s12, -1
	s_or_b32 s6, s6, exec_lo
	s_and_saveexec_b32 s11, s10
	s_cbranch_execz .LBB4_637
	s_branch .LBB4_641
.LBB4_640:                              ;   in Loop: Header=BB4_638 Depth=1
	s_trap 2
	ds_load_b64 v[2:3], v0
	s_and_not1_b32 s10, s10, exec_lo
	s_mov_b32 s7, 0
	s_wait_loadcnt_dscnt 0x0
	flat_load_b32 v2, v[2:3] scope:SCOPE_SYS
	s_wait_loadcnt_dscnt 0x0
	global_inv scope:SCOPE_SYS
	v_cmp_eq_u32_e32 vcc_lo, 0, v2
	s_and_b32 s11, vcc_lo, exec_lo
	s_delay_alu instid0(SALU_CYCLE_1)
	s_or_b32 s10, s10, s11
	s_mov_b32 s12, -1
	s_or_b32 s6, s6, exec_lo
	s_and_saveexec_b32 s11, s10
	s_cbranch_execz .LBB4_637
.LBB4_641:                              ;   in Loop: Header=BB4_638 Depth=1
	s_sleep 1
	s_trap 2
	ds_load_b64 v[2:3], v0
	s_wait_dscnt 0x0
	s_and_not1_b32 s6, s6, exec_lo
	v_cmp_ge_u64_e32 vcc_lo, v[2:3], v[0:1]
	s_or_not1_b32 s12, vcc_lo, exec_lo
	s_branch .LBB4_637
.LBB4_642:
	s_or_b32 exec_lo, exec_lo, s4
	s_and_saveexec_b32 s4, s5
	s_delay_alu instid0(SALU_CYCLE_1)
	s_xor_b32 s4, exec_lo, s4
	s_cbranch_execz .LBB4_644
; %bb.643:
	v_mov_b32_e32 v0, 1
	ds_store_b32 v0, v0
	s_trap 2
.LBB4_644:
	s_or_b32 exec_lo, exec_lo, s3
	;;#ASMSTART
	s_wakeup
	;;#ASMEND
.LBB4_645:
	s_or_b32 exec_lo, exec_lo, s2
.LBB4_646:
	s_and_not1_saveexec_b32 s0, s0
	s_cbranch_execz .LBB4_648
; %bb.647:
	global_wb scope:SCOPE_DEV
	s_wait_storecnt 0x0
	s_wait_loadcnt_dscnt 0x0
	global_inv scope:SCOPE_DEV
	s_barrier_signal -1
	s_barrier_wait -1
.LBB4_648:
	s_or_b32 exec_lo, exec_lo, s1
.LBB4_649:
	s_and_not1_saveexec_b32 s21, s17
	s_cbranch_execz .LBB4_651
; %bb.650:
	s_get_pc_i64 s[0:1]
	s_add_nc_u64 s[0:1], s[0:1], __PRETTY_FUNCTION__._ZN10PrimitivesIa7FuncSumIaE12FanSymmetricILi1EELi0E11ProtoSimpleILi2ELi2ELi0ELi2ELi0ELi0EELi0ELb0ELi0ELi0ELi0EEC2EiiPKiS8_PKvPvmhhhP15ncclDevWorkCollP14ncclDevWorkP2pii@rel64+4
	s_get_pc_i64 s[2:3]
	s_add_nc_u64 s[2:3], s[2:3], __assert_fail@rel64+4
	v_dual_mov_b32 v0, s0 :: v_dual_mov_b32 v1, s1
	s_swap_pc_i64 s[30:31], s[2:3]
	; divergent unreachable
.LBB4_651:
	s_or_b32 exec_lo, exec_lo, s21
	s_clause 0x1c
	scratch_load_b32 v92, off, s33
	scratch_load_b32 v91, off, s33 offset:4
	scratch_load_b32 v90, off, s33 offset:8
	;; [unrolled: 1-line block ×28, first 2 shown]
	v_readlane_b32 s30, v93, 0
	v_readlane_b32 s31, v93, 1
	s_mov_b32 s32, s33
	s_wait_xcnt 0x0
	s_or_saveexec_b32 s0, -1
	scratch_load_b32 v93, off, s33 offset:116 ; 4-byte Folded Reload
	s_wait_xcnt 0x0
	s_mov_b32 exec_lo, s0
	s_mov_b32 s33, s63
	s_wait_loadcnt_dscnt 0x0
	s_set_pc_i64 s[30:31]
.Lfunc_end4:
	.size	_ZN12_GLOBAL__N_17runRingIa7FuncSumIaE11ProtoSimpleILi2ELi2ELi0ELi2ELi0ELi0EELi0ELi2ELi0EEEviiP15ncclDevWorkColl, .Lfunc_end4-_ZN12_GLOBAL__N_17runRingIa7FuncSumIaE11ProtoSimpleILi2ELi2ELi0ELi2ELi0ELi0EELi0ELi2ELi0EEEviiP15ncclDevWorkColl
                                        ; -- End function
	.set .L_ZN12_GLOBAL__N_17runRingIa7FuncSumIaE11ProtoSimpleILi2ELi2ELi0ELi2ELi0ELi0EELi0ELi2ELi0EEEviiP15ncclDevWorkColl.num_vgpr, max(120, .L__assert_fail.num_vgpr)
	.set .L_ZN12_GLOBAL__N_17runRingIa7FuncSumIaE11ProtoSimpleILi2ELi2ELi0ELi2ELi0ELi0EELi0ELi2ELi0EEEviiP15ncclDevWorkColl.num_agpr, max(0, .L__assert_fail.num_agpr)
	.set .L_ZN12_GLOBAL__N_17runRingIa7FuncSumIaE11ProtoSimpleILi2ELi2ELi0ELi2ELi0ELi0EELi0ELi2ELi0EEEviiP15ncclDevWorkColl.numbered_sgpr, max(64, .L__assert_fail.numbered_sgpr)
	.set .L_ZN12_GLOBAL__N_17runRingIa7FuncSumIaE11ProtoSimpleILi2ELi2ELi0ELi2ELi0ELi0EELi0ELi2ELi0EEEviiP15ncclDevWorkColl.num_named_barrier, max(0, .L__assert_fail.num_named_barrier)
	.set .L_ZN12_GLOBAL__N_17runRingIa7FuncSumIaE11ProtoSimpleILi2ELi2ELi0ELi2ELi0ELi0EELi0ELi2ELi0EEEviiP15ncclDevWorkColl.private_seg_size, 128+max(.L__assert_fail.private_seg_size)
	.set .L_ZN12_GLOBAL__N_17runRingIa7FuncSumIaE11ProtoSimpleILi2ELi2ELi0ELi2ELi0ELi0EELi0ELi2ELi0EEEviiP15ncclDevWorkColl.uses_vcc, or(1, .L__assert_fail.uses_vcc)
	.set .L_ZN12_GLOBAL__N_17runRingIa7FuncSumIaE11ProtoSimpleILi2ELi2ELi0ELi2ELi0ELi0EELi0ELi2ELi0EEEviiP15ncclDevWorkColl.uses_flat_scratch, or(1, .L__assert_fail.uses_flat_scratch)
	.set .L_ZN12_GLOBAL__N_17runRingIa7FuncSumIaE11ProtoSimpleILi2ELi2ELi0ELi2ELi0ELi0EELi0ELi2ELi0EEEviiP15ncclDevWorkColl.has_dyn_sized_stack, or(0, .L__assert_fail.has_dyn_sized_stack)
	.set .L_ZN12_GLOBAL__N_17runRingIa7FuncSumIaE11ProtoSimpleILi2ELi2ELi0ELi2ELi0ELi0EELi0ELi2ELi0EEEviiP15ncclDevWorkColl.has_recursion, or(1, .L__assert_fail.has_recursion)
	.set .L_ZN12_GLOBAL__N_17runRingIa7FuncSumIaE11ProtoSimpleILi2ELi2ELi0ELi2ELi0ELi0EELi0ELi2ELi0EEEviiP15ncclDevWorkColl.has_indirect_call, or(0, .L__assert_fail.has_indirect_call)
	.section	.AMDGPU.csdata,"",@progbits
; Function info:
; codeLenInByte = 25468
; TotalNumSgprs: 66
; NumVgprs: 120
; ScratchSize: 192
; MemoryBound: 0
	.text
	.p2align	2                               ; -- Begin function _Z50ncclDevFunc_AlltoAllPivot_RING_SIMPLE_Sum_i8_0_0_2v
	.type	_Z50ncclDevFunc_AlltoAllPivot_RING_SIMPLE_Sum_i8_0_0_2v,@function
_Z50ncclDevFunc_AlltoAllPivot_RING_SIMPLE_Sum_i8_0_0_2v: ; @_Z50ncclDevFunc_AlltoAllPivot_RING_SIMPLE_Sum_i8_0_0_2v
; %bb.0:
	s_wait_loadcnt_dscnt 0x0
	s_wait_kmcnt 0x0
	s_mov_b32 s79, s33
	s_mov_b32 s33, s32
	s_or_saveexec_b32 s0, -1
	scratch_store_b32 off, v42, s33 offset:12 ; 4-byte Folded Spill
	s_wait_xcnt 0x0
	s_mov_b32 exec_lo, s0
	s_add_co_i32 s32, s32, 32
	s_clause 0x2
	scratch_store_b32 off, v40, s33 offset:8
	; meta instruction
	scratch_store_b32 off, v41, s33 offset:4
	; meta instruction
	scratch_store_b32 off, v93, s33
	v_writelane_b32 v42, s30, 0
	v_writelane_b32 v42, s31, 1
	s_trap 2
	ds_load_b32 v0, v0
	s_wait_xcnt 0x2
	v_mov_b32_e32 v40, v31
	s_wait_dscnt 0x0
	v_cmp_gt_i32_e32 vcc_lo, 1, v0
	s_cbranch_vccnz .LBB5_8
; %bb.1:
	s_wait_xcnt 0x1
	v_and_b32_e32 v41, 0x3ff, v40
	s_mov_b32 s74, s12
	s_mov_b64 s[72:73], s[8:9]
	s_mov_b32 s75, 0
	s_get_pc_i64 s[76:77]
	s_add_nc_u64 s[76:77], s[76:77], _ZN12_GLOBAL__N_17runRingIa7FuncSumIaE11ProtoSimpleILi2ELi2ELi0ELi2ELi0ELi0EELi0ELi2ELi0EEEviiP15ncclDevWorkColl@rel64+4
	s_branch .LBB5_3
.LBB5_2:                                ;   in Loop: Header=BB5_3 Depth=1
	s_or_b32 exec_lo, exec_lo, s78
	s_trap 2
	ds_load_b32 v0, v0
	s_add_co_i32 s75, s75, 1
	s_wait_dscnt 0x0
	v_cmp_lt_i32_e32 vcc_lo, s75, v0
	s_cbranch_vccz .LBB5_8
.LBB5_3:                                ; =>This Inner Loop Header: Depth=1
	s_trap 2
	ds_load_b32 v0, v0
	s_cmp_eq_u32 s75, 0
	s_cbranch_scc1 .LBB5_6
; %bb.4:                                ;   in Loop: Header=BB5_3 Depth=1
	s_trap 2
	s_wait_dscnt 0x0
	ds_load_b32 v1, v0
	s_wait_dscnt 0x0
	v_xor_b32_e32 v1, v1, v0
	s_delay_alu instid0(VALU_DEP_1) | instskip(NEXT) | instid1(VALU_DEP_1)
	v_and_b32_e32 v1, 0xff0000, v1
	v_cmp_eq_u32_e32 vcc_lo, 0, v1
	s_cbranch_vccnz .LBB5_6
; %bb.5:                                ;   in Loop: Header=BB5_3 Depth=1
	s_wait_storecnt 0x0
	s_barrier_signal -1
	s_barrier_wait -1
	ds_load_b32 v0, v0
.LBB5_6:                                ;   in Loop: Header=BB5_3 Depth=1
	s_wait_dscnt 0x0
	v_lshrrev_b32_e32 v0, 11, v0
	s_mov_b32 s78, exec_lo
	s_delay_alu instid0(VALU_DEP_1) | instskip(SKIP_1) | instid1(VALU_DEP_1)
	v_and_b32_e32 v1, 0x1fe0, v0
	s_wait_xcnt 0x0
	v_cmpx_lt_u32_e64 v41, v1
	s_cbranch_execz .LBB5_2
; %bb.7:                                ;   in Loop: Header=BB5_3 Depth=1
	s_mov_b64 s[0:1], src_shared_base
	v_dual_mov_b32 v31, v40 :: v_dual_mov_b32 v0, v41
	v_mov_b32_e32 v3, s1
	s_mov_b64 s[8:9], s[72:73]
	s_mov_b32 s12, s74
	s_swap_pc_i64 s[30:31], s[76:77]
	s_branch .LBB5_2
.LBB5_8:
	s_clause 0x2
	scratch_load_b32 v93, off, s33
	scratch_load_b32 v41, off, s33 offset:4
	scratch_load_b32 v40, off, s33 offset:8
	v_readlane_b32 s30, v42, 0
	v_readlane_b32 s31, v42, 1
	s_mov_b32 s32, s33
	s_wait_xcnt 0x0
	s_or_saveexec_b32 s0, -1
	scratch_load_b32 v42, off, s33 offset:12 ; 4-byte Folded Reload
	s_wait_xcnt 0x0
	s_mov_b32 exec_lo, s0
	s_mov_b32 s33, s79
	s_wait_loadcnt 0x0
	s_set_pc_i64 s[30:31]
.Lfunc_end5:
	.size	_Z50ncclDevFunc_AlltoAllPivot_RING_SIMPLE_Sum_i8_0_0_2v, .Lfunc_end5-_Z50ncclDevFunc_AlltoAllPivot_RING_SIMPLE_Sum_i8_0_0_2v
                                        ; -- End function
	.set .L_Z50ncclDevFunc_AlltoAllPivot_RING_SIMPLE_Sum_i8_0_0_2v.num_vgpr, max(94, .L_ZN12_GLOBAL__N_17runRingIa7FuncSumIaE11ProtoSimpleILi2ELi2ELi0ELi2ELi0ELi0EELi0ELi2ELi0EEEviiP15ncclDevWorkColl.num_vgpr)
	.set .L_Z50ncclDevFunc_AlltoAllPivot_RING_SIMPLE_Sum_i8_0_0_2v.num_agpr, max(0, .L_ZN12_GLOBAL__N_17runRingIa7FuncSumIaE11ProtoSimpleILi2ELi2ELi0ELi2ELi0ELi0EELi0ELi2ELi0EEEviiP15ncclDevWorkColl.num_agpr)
	.set .L_Z50ncclDevFunc_AlltoAllPivot_RING_SIMPLE_Sum_i8_0_0_2v.numbered_sgpr, max(80, .L_ZN12_GLOBAL__N_17runRingIa7FuncSumIaE11ProtoSimpleILi2ELi2ELi0ELi2ELi0ELi0EELi0ELi2ELi0EEEviiP15ncclDevWorkColl.numbered_sgpr)
	.set .L_Z50ncclDevFunc_AlltoAllPivot_RING_SIMPLE_Sum_i8_0_0_2v.num_named_barrier, max(0, .L_ZN12_GLOBAL__N_17runRingIa7FuncSumIaE11ProtoSimpleILi2ELi2ELi0ELi2ELi0ELi0EELi0ELi2ELi0EEEviiP15ncclDevWorkColl.num_named_barrier)
	.set .L_Z50ncclDevFunc_AlltoAllPivot_RING_SIMPLE_Sum_i8_0_0_2v.private_seg_size, 32+max(.L_ZN12_GLOBAL__N_17runRingIa7FuncSumIaE11ProtoSimpleILi2ELi2ELi0ELi2ELi0ELi0EELi0ELi2ELi0EEEviiP15ncclDevWorkColl.private_seg_size)
	.set .L_Z50ncclDevFunc_AlltoAllPivot_RING_SIMPLE_Sum_i8_0_0_2v.uses_vcc, or(1, .L_ZN12_GLOBAL__N_17runRingIa7FuncSumIaE11ProtoSimpleILi2ELi2ELi0ELi2ELi0ELi0EELi0ELi2ELi0EEEviiP15ncclDevWorkColl.uses_vcc)
	.set .L_Z50ncclDevFunc_AlltoAllPivot_RING_SIMPLE_Sum_i8_0_0_2v.uses_flat_scratch, or(1, .L_ZN12_GLOBAL__N_17runRingIa7FuncSumIaE11ProtoSimpleILi2ELi2ELi0ELi2ELi0ELi0EELi0ELi2ELi0EEEviiP15ncclDevWorkColl.uses_flat_scratch)
	.set .L_Z50ncclDevFunc_AlltoAllPivot_RING_SIMPLE_Sum_i8_0_0_2v.has_dyn_sized_stack, or(0, .L_ZN12_GLOBAL__N_17runRingIa7FuncSumIaE11ProtoSimpleILi2ELi2ELi0ELi2ELi0ELi0EELi0ELi2ELi0EEEviiP15ncclDevWorkColl.has_dyn_sized_stack)
	.set .L_Z50ncclDevFunc_AlltoAllPivot_RING_SIMPLE_Sum_i8_0_0_2v.has_recursion, or(1, .L_ZN12_GLOBAL__N_17runRingIa7FuncSumIaE11ProtoSimpleILi2ELi2ELi0ELi2ELi0ELi0EELi0ELi2ELi0EEEviiP15ncclDevWorkColl.has_recursion)
	.set .L_Z50ncclDevFunc_AlltoAllPivot_RING_SIMPLE_Sum_i8_0_0_2v.has_indirect_call, or(0, .L_ZN12_GLOBAL__N_17runRingIa7FuncSumIaE11ProtoSimpleILi2ELi2ELi0ELi2ELi0ELi0EELi0ELi2ELi0EEEviiP15ncclDevWorkColl.has_indirect_call)
	.section	.AMDGPU.csdata,"",@progbits
; Function info:
; codeLenInByte = 464
; TotalNumSgprs: 82
; NumVgprs: 120
; ScratchSize: 224
; MemoryBound: 0
	.text
	.p2align	2                               ; -- Begin function _ZN12_GLOBAL__N_17runRingIa7FuncSumIaE11ProtoSimpleILi2ELi2ELi0ELi4ELi0ELi0EELi0ELi4ELi0EEEviiP15ncclDevWorkColl
	.type	_ZN12_GLOBAL__N_17runRingIa7FuncSumIaE11ProtoSimpleILi2ELi2ELi0ELi4ELi0ELi0EELi0ELi4ELi0EEEviiP15ncclDevWorkColl,@function
_ZN12_GLOBAL__N_17runRingIa7FuncSumIaE11ProtoSimpleILi2ELi2ELi0ELi4ELi0ELi0EELi0ELi4ELi0EEEviiP15ncclDevWorkColl: ; @_ZN12_GLOBAL__N_17runRingIa7FuncSumIaE11ProtoSimpleILi2ELi2ELi0ELi4ELi0ELi0EELi0ELi4ELi0EEEviiP15ncclDevWorkColl
; %bb.0:
	s_wait_loadcnt_dscnt 0x0
	s_wait_kmcnt 0x0
	s_mov_b32 s63, s33
	s_mov_b32 s33, s32
	s_or_saveexec_b32 s0, -1
	scratch_store_b32 off, v127, s33 offset:188 ; 4-byte Folded Spill
	s_wait_xcnt 0x0
	s_mov_b32 exec_lo, s0
	s_addk_co_i32 s32, 0xd0
	s_clause 0x2e
	scratch_store_b32 off, v40, s33 offset:184
	; meta instruction
	scratch_store_b32 off, v41, s33 offset:180
	; meta instruction
	;; [unrolled: 2-line block ×46, first 2 shown]
	scratch_store_b32 off, v126, s33
	v_writelane_b32 v127, s30, 0
	v_writelane_b32 v127, s31, 1
	s_trap 2
	s_clause 0x2
	flat_load_b32 v10, v[2:3]
	flat_load_b128 v[4:7], v[2:3] offset:72
	flat_load_b64 v[8:9], v[2:3] offset:88
	ds_load_b32 v15, v0
	s_mov_b32 s0, exec_lo
                                        ; implicit-def: $vgpr32_vgpr33
	s_wait_dscnt 0x0
	v_readfirstlane_b32 s16, v15
	s_wait_loadcnt 0x2
	v_and_b32_e32 v17, 0xff, v10
	v_bfe_u32 v18, v10, 8, 8
	s_wait_xcnt 0x0
	s_delay_alu instid0(VALU_DEP_2)
	v_cmpx_ne_u32_e64 v15, v17
	s_xor_b32 s0, exec_lo, s0
	s_cbranch_execz .LBB6_6
; %bb.1:
	flat_load_b64 v[10:11], v[2:3] offset:96
	s_mov_b32 s1, exec_lo
                                        ; implicit-def: $vgpr32_vgpr33
	s_wait_xcnt 0x0
	v_cmpx_ne_u32_e64 v15, v18
	s_xor_b32 s1, exec_lo, s1
	s_cbranch_execz .LBB6_3
; %bb.2:
	s_wait_loadcnt_dscnt 0x0
	v_lshrrev_b64 v[32:33], 12, v[10:11]
                                        ; implicit-def: $vgpr10_vgpr11
.LBB6_3:
	s_and_not1_saveexec_b32 s1, s1
	s_cbranch_execz .LBB6_5
; %bb.4:
	s_wait_loadcnt_dscnt 0x0
	v_lshrrev_b32_e32 v32, 1, v11
.LBB6_5:
	s_or_b32 exec_lo, exec_lo, s1
.LBB6_6:
	s_and_not1_saveexec_b32 s0, s0
	s_cbranch_execz .LBB6_8
; %bb.7:
	s_wait_loadcnt_dscnt 0x0
	flat_load_b64 v[10:11], v[2:3] offset:96
	s_wait_loadcnt_dscnt 0x0
	v_lshlrev_b64_e32 v[32:33], 9, v[10:11]
.LBB6_8:
	s_wait_xcnt 0x0
	s_or_b32 exec_lo, exec_lo, s0
	s_wait_loadcnt_dscnt 0x0
	flat_load_u16 v10, v[2:3] offset:8
	v_xad_u32 v11, v17, -1, v18
                                        ; implicit-def: $vgpr34_vgpr35
	v_dual_mov_b32 v29, 0 :: v_dual_sub_nc_u32 v15, v15, v17
	s_delay_alu instid0(VALU_DEP_2) | instskip(NEXT) | instid1(VALU_DEP_1)
	v_mad_nc_u64_u32 v[4:5], v6, v11, v[4:5]
	v_mad_u32 v5, v7, v11, v5
	v_ashrrev_i32_e32 v7, 31, v11
	s_delay_alu instid0(VALU_DEP_1) | instskip(NEXT) | instid1(VALU_DEP_1)
	v_mad_u32 v5, v6, v7, v5
	v_add_nc_u64_e32 v[12:13], v[4:5], v[8:9]
	s_delay_alu instid0(VALU_DEP_1) | instskip(NEXT) | instid1(VALU_DEP_1)
	v_sub_nc_u64_e32 v[4:5], 0, v[12:13]
	v_and_b32_e32 v5, v13, v5
	s_delay_alu instid0(VALU_DEP_2) | instskip(NEXT) | instid1(VALU_DEP_2)
	v_and_b32_e32 v4, v12, v4
	v_cvt_f64_u32_e32 v[6:7], v5
	s_delay_alu instid0(VALU_DEP_1) | instskip(SKIP_3) | instid1(VALU_DEP_2)
	v_ldexp_f64 v[6:7], v[6:7], 32
	s_wait_loadcnt_dscnt 0x0
	v_lshrrev_b32_e32 v21, 1, v10
	v_cvt_f64_u32_e32 v[4:5], v4
	v_lshlrev_b32_e32 v14, 1, v21
	s_delay_alu instid0(VALU_DEP_1) | instskip(NEXT) | instid1(VALU_DEP_1)
	v_dual_add_f64 v[4:5], v[6:7], v[4:5] :: v_dual_sub_nc_u32 v6, 0, v14
	v_dual_mov_b32 v6, v29 :: v_dual_max_i32 v16, v14, v6
	s_delay_alu instid0(VALU_DEP_2) | instskip(NEXT) | instid1(VALU_DEP_1)
	v_min_num_f64_e32 v[4:5], 0x40700000, v[4:5]
	v_cvt_i32_f64_e32 v66, v[4:5]
	s_delay_alu instid0(VALU_DEP_3) | instskip(SKIP_1) | instid1(VALU_DEP_2)
	v_cvt_f32_u32_e32 v4, v16
	v_sub_nc_u32_e32 v5, 0, v16
	v_rcp_iflag_f32_e32 v4, v4
	v_nop
	s_delay_alu instid0(TRANS32_DEP_1) | instskip(NEXT) | instid1(VALU_DEP_1)
	v_dual_mul_f32 v4, 0x4f7ffffe, v4 :: v_dual_ashrrev_i32 v67, 31, v66
	v_cvt_u32_f32_e32 v4, v4
	s_delay_alu instid0(VALU_DEP_2) | instskip(NEXT) | instid1(VALU_DEP_2)
	v_or_b32_e32 v7, v13, v67
	v_mul_lo_u32 v5, v5, v4
	s_delay_alu instid0(VALU_DEP_2) | instskip(SKIP_1) | instid1(VALU_DEP_3)
	v_cmp_ne_u64_e32 vcc_lo, 0, v[6:7]
	v_sub_nc_u32_e32 v6, 0, v15
	v_mul_hi_u32 v5, v4, v5
	s_wait_xcnt 0x0
	s_and_saveexec_b32 s0, vcc_lo
	s_delay_alu instid0(SALU_CYCLE_1)
	s_xor_b32 s1, exec_lo, s0
	s_cbranch_execz .LBB6_10
; %bb.9:
	v_cvt_f32_u32_e32 v7, v66
	v_cvt_f32_u32_e32 v8, v67
	v_dual_mov_b32 v27, v29 :: v_dual_mov_b32 v25, v29
	s_delay_alu instid0(VALU_DEP_2) | instskip(NEXT) | instid1(VALU_DEP_1)
	v_fmamk_f32 v7, v8, 0x4f800000, v7
	v_rcp_f32_e32 v7, v7
	v_nop
	s_delay_alu instid0(TRANS32_DEP_1) | instskip(NEXT) | instid1(VALU_DEP_1)
	v_mul_f32_e32 v7, 0x5f7ffffc, v7
	v_mul_f32_e32 v8, 0x2f800000, v7
	s_delay_alu instid0(VALU_DEP_1) | instskip(SKIP_1) | instid1(VALU_DEP_2)
	v_trunc_f32_e32 v10, v8
	v_sub_nc_u64_e32 v[8:9], 0, v[66:67]
	v_cvt_u32_f32_e32 v11, v10
	s_delay_alu instid0(VALU_DEP_1) | instskip(NEXT) | instid1(VALU_DEP_1)
	v_dual_fmamk_f32 v7, v10, 0xcf800000, v7 :: v_dual_mov_b32 v26, v11
	v_cvt_u32_f32_e32 v28, v7
	s_delay_alu instid0(VALU_DEP_1) | instskip(NEXT) | instid1(VALU_DEP_1)
	v_mov_b32_e32 v10, v28
	v_mul_u64_e32 v[22:23], v[8:9], v[10:11]
	s_delay_alu instid0(VALU_DEP_1) | instskip(NEXT) | instid1(VALU_DEP_1)
	v_dual_mov_b32 v24, v23 :: v_dual_mov_b32 v23, v29
	v_mul_u64_e32 v[34:35], v[28:29], v[24:25]
	s_delay_alu instid0(VALU_DEP_2) | instskip(SKIP_2) | instid1(VALU_DEP_1)
	v_mul_u64_e32 v[36:37], v[26:27], v[22:23]
	v_mul_u64_e32 v[24:25], v[26:27], v[24:25]
	v_mul_hi_u32 v22, v28, v22
	v_add_nc_u64_e32 v[22:23], v[22:23], v[34:35]
	s_delay_alu instid0(VALU_DEP_1) | instskip(NEXT) | instid1(VALU_DEP_2)
	v_add_co_u32 v7, vcc_lo, v22, v36
	v_add_co_ci_u32_e32 v26, vcc_lo, v23, v37, vcc_lo
	v_add_co_ci_u32_e32 v25, vcc_lo, 0, v25, vcc_lo
	s_delay_alu instid0(VALU_DEP_1) | instskip(NEXT) | instid1(VALU_DEP_1)
	v_add_nc_u64_e32 v[22:23], v[26:27], v[24:25]
	v_add_co_u32 v10, vcc_lo, v28, v22
	s_delay_alu instid0(VALU_DEP_1) | instskip(NEXT) | instid1(VALU_DEP_1)
	v_add_co_ci_u32_e64 v28, null, v11, v23, vcc_lo
	v_dual_mov_b32 v23, v29 :: v_dual_mov_b32 v11, v28
	s_delay_alu instid0(VALU_DEP_1) | instskip(NEXT) | instid1(VALU_DEP_1)
	v_mul_u64_e32 v[8:9], v[8:9], v[10:11]
	v_dual_mov_b32 v11, v29 :: v_dual_mov_b32 v22, v9
	s_delay_alu instid0(VALU_DEP_2) | instskip(SKIP_1) | instid1(VALU_DEP_3)
	v_dual_mov_b32 v26, v8 :: v_dual_mov_b32 v9, v29
	v_mul_hi_u32 v8, v10, v8
	v_mul_u64_e32 v[24:25], v[10:11], v[22:23]
	s_delay_alu instid0(VALU_DEP_3) | instskip(SKIP_1) | instid1(VALU_DEP_3)
	v_mul_u64_e32 v[26:27], v[28:29], v[26:27]
	v_mul_u64_e32 v[22:23], v[28:29], v[22:23]
	v_add_nc_u64_e32 v[8:9], v[8:9], v[24:25]
	v_mov_b32_e32 v25, v29
	s_delay_alu instid0(VALU_DEP_2) | instskip(NEXT) | instid1(VALU_DEP_3)
	v_add_co_u32 v7, vcc_lo, v8, v26
	v_add_co_ci_u32_e32 v24, vcc_lo, v9, v27, vcc_lo
	v_add_co_ci_u32_e32 v23, vcc_lo, 0, v23, vcc_lo
	s_delay_alu instid0(VALU_DEP_1) | instskip(SKIP_1) | instid1(VALU_DEP_2)
	v_add_nc_u64_e32 v[8:9], v[24:25], v[22:23]
	v_dual_mov_b32 v22, v12 :: v_dual_mov_b32 v23, v29
	v_add_co_u32 v8, vcc_lo, v10, v8
	s_delay_alu instid0(VALU_DEP_1) | instskip(SKIP_1) | instid1(VALU_DEP_2)
	v_add_co_ci_u32_e64 v28, null, v28, v9, vcc_lo
	v_dual_mov_b32 v10, v13 :: v_dual_mov_b32 v9, v29
	v_mul_u64_e32 v[22:23], v[22:23], v[28:29]
	s_delay_alu instid0(VALU_DEP_2) | instskip(SKIP_2) | instid1(VALU_DEP_1)
	v_mul_u64_e32 v[24:25], v[10:11], v[8:9]
	v_mul_u64_e32 v[10:11], v[10:11], v[28:29]
	v_mul_hi_u32 v8, v12, v8
	v_add_nc_u64_e32 v[8:9], v[8:9], v[22:23]
	s_delay_alu instid0(VALU_DEP_1) | instskip(NEXT) | instid1(VALU_DEP_2)
	v_add_co_u32 v7, vcc_lo, v8, v24
	v_add_co_ci_u32_e32 v28, vcc_lo, v9, v25, vcc_lo
	v_add_co_ci_u32_e32 v11, vcc_lo, 0, v11, vcc_lo
	s_delay_alu instid0(VALU_DEP_1) | instskip(NEXT) | instid1(VALU_DEP_1)
	v_add_nc_u64_e32 v[8:9], v[28:29], v[10:11]
	v_mul_u64_e32 v[10:11], v[66:67], v[8:9]
	v_add_nc_u64_e32 v[22:23], 2, v[8:9]
	s_delay_alu instid0(VALU_DEP_2) | instskip(NEXT) | instid1(VALU_DEP_3)
	v_sub_nc_u32_e32 v7, v13, v11
	v_sub_co_u32 v10, vcc_lo, v12, v10
	s_delay_alu instid0(VALU_DEP_1) | instskip(NEXT) | instid1(VALU_DEP_3)
	v_sub_co_ci_u32_e64 v24, null, v13, v11, vcc_lo
	v_sub_co_ci_u32_e64 v7, null, v7, v67, vcc_lo
	s_delay_alu instid0(VALU_DEP_3) | instskip(SKIP_1) | instid1(VALU_DEP_3)
	v_sub_co_u32 v19, s0, v10, v66
	v_cmp_ge_u32_e32 vcc_lo, v10, v66
	v_subrev_co_ci_u32_e64 v7, null, 0, v7, s0
	s_delay_alu instid0(VALU_DEP_3) | instskip(SKIP_2) | instid1(VALU_DEP_4)
	v_cmp_ge_u32_e64 s0, v19, v66
	v_add_nc_u64_e32 v[10:11], 1, v[8:9]
	v_cndmask_b32_e64 v25, 0, -1, vcc_lo
	v_cmp_eq_u32_e32 vcc_lo, v7, v67
	s_delay_alu instid0(VALU_DEP_4) | instskip(SKIP_1) | instid1(VALU_DEP_1)
	v_cndmask_b32_e64 v19, 0, -1, s0
	v_cmp_ge_u32_e64 s0, v7, v67
	v_cndmask_b32_e64 v20, 0, -1, s0
	v_cmp_eq_u32_e64 s0, v24, v67
	s_delay_alu instid0(VALU_DEP_2) | instskip(SKIP_2) | instid1(VALU_DEP_3)
	v_cndmask_b32_e32 v7, v20, v19, vcc_lo
	v_cmp_ge_u32_e32 vcc_lo, v24, v67
	v_cndmask_b32_e64 v19, 0, -1, vcc_lo
	v_cmp_ne_u32_e32 vcc_lo, 0, v7
	v_dual_cndmask_b32 v10, v10, v22 :: v_dual_cndmask_b32 v11, v11, v23
	s_delay_alu instid0(VALU_DEP_3) | instskip(NEXT) | instid1(VALU_DEP_1)
	v_cndmask_b32_e64 v7, v19, v25, s0
	v_cmp_ne_u32_e32 vcc_lo, 0, v7
	s_delay_alu instid0(VALU_DEP_3)
	v_dual_cndmask_b32 v34, v8, v10 :: v_dual_cndmask_b32 v35, v9, v11
.LBB6_10:
	s_or_saveexec_b32 s0, s1
	s_delay_alu instid0(VALU_DEP_1)
	v_dual_add_nc_u32 v4, v4, v5 :: v_dual_max_i32 v28, v15, v6
	s_xor_b32 exec_lo, exec_lo, s0
	s_cbranch_execz .LBB6_12
; %bb.11:
	v_cvt_f32_u32_e32 v5, v66
	v_dual_mov_b32 v35, 0 :: v_dual_sub_nc_u32 v6, 0, v66
	s_delay_alu instid0(VALU_DEP_2) | instskip(SKIP_1) | instid1(TRANS32_DEP_1)
	v_rcp_iflag_f32_e32 v5, v5
	v_nop
	v_mul_f32_e32 v5, 0x4f7ffffe, v5
	s_delay_alu instid0(VALU_DEP_1) | instskip(NEXT) | instid1(VALU_DEP_1)
	v_cvt_u32_f32_e32 v5, v5
	v_mul_lo_u32 v6, v6, v5
	s_delay_alu instid0(VALU_DEP_1) | instskip(NEXT) | instid1(VALU_DEP_1)
	v_mul_hi_u32 v6, v5, v6
	v_add_nc_u32_e32 v5, v5, v6
	s_delay_alu instid0(VALU_DEP_1) | instskip(NEXT) | instid1(VALU_DEP_1)
	v_mul_hi_u32 v5, v12, v5
	v_mul_lo_u32 v6, v5, v66
	s_delay_alu instid0(VALU_DEP_1) | instskip(NEXT) | instid1(VALU_DEP_1)
	v_dual_sub_nc_u32 v6, v12, v6 :: v_dual_add_nc_u32 v7, 1, v5
	v_sub_nc_u32_e32 v8, v6, v66
	v_cmp_ge_u32_e32 vcc_lo, v6, v66
	s_delay_alu instid0(VALU_DEP_2) | instskip(NEXT) | instid1(VALU_DEP_1)
	v_dual_cndmask_b32 v6, v6, v8 :: v_dual_cndmask_b32 v5, v5, v7
	v_cmp_ge_u32_e32 vcc_lo, v6, v66
	s_delay_alu instid0(VALU_DEP_2) | instskip(NEXT) | instid1(VALU_DEP_1)
	v_add_nc_u32_e32 v7, 1, v5
	v_cndmask_b32_e32 v34, v5, v7, vcc_lo
.LBB6_12:
	s_or_b32 exec_lo, exec_lo, s0
	v_sub_nc_u32_e32 v5, v18, v17
                                        ; implicit-def: $vgpr50_vgpr51
	s_mov_b32 s0, exec_lo
	v_mov_b32_e32 v10, 0
	s_delay_alu instid0(VALU_DEP_2) | instskip(NEXT) | instid1(VALU_DEP_1)
	v_add_nc_u16 v5, v5, 1
	v_lshrrev_b16 v6, 15, v5
	s_delay_alu instid0(VALU_DEP_1) | instskip(NEXT) | instid1(VALU_DEP_1)
	v_add_nc_u16 v5, v5, v6
	v_ashrrev_i16 v5, 1, v5
	s_delay_alu instid0(VALU_DEP_1) | instskip(NEXT) | instid1(VALU_DEP_1)
	v_bfe_i32 v36, v5, 0, 16
	v_dual_mov_b32 v5, v29 :: v_dual_ashrrev_i32 v37, 31, v36
	s_delay_alu instid0(VALU_DEP_1) | instskip(NEXT) | instid1(VALU_DEP_1)
	v_or_b32_e32 v11, v35, v37
	v_cmpx_ne_u64_e32 0, v[10:11]
	s_xor_b32 s1, exec_lo, s0
	s_cbranch_execz .LBB6_14
; %bb.13:
	v_dual_mov_b32 v19, v10 :: v_dual_ashrrev_i32 v6, 31, v37
	v_dual_mov_b32 v39, v10 :: v_dual_mov_b32 v49, v10
	s_delay_alu instid0(VALU_DEP_2) | instskip(NEXT) | instid1(VALU_DEP_1)
	v_mov_b32_e32 v7, v6
	v_add_nc_u64_e32 v[8:9], v[36:37], v[6:7]
	s_delay_alu instid0(VALU_DEP_1) | instskip(NEXT) | instid1(VALU_DEP_2)
	v_xor_b32_e32 v8, v8, v6
	v_xor_b32_e32 v9, v9, v6
	s_delay_alu instid0(VALU_DEP_2) | instskip(NEXT) | instid1(VALU_DEP_2)
	v_cvt_f32_u32_e32 v7, v8
	v_cvt_f32_u32_e32 v11, v9
	s_delay_alu instid0(VALU_DEP_1) | instskip(NEXT) | instid1(VALU_DEP_1)
	v_fmamk_f32 v7, v11, 0x4f800000, v7
	v_rcp_f32_e32 v7, v7
	v_nop
	s_delay_alu instid0(TRANS32_DEP_1) | instskip(NEXT) | instid1(VALU_DEP_1)
	v_mul_f32_e32 v7, 0x5f7ffffc, v7
	v_mul_f32_e32 v11, 0x2f800000, v7
	s_delay_alu instid0(VALU_DEP_1) | instskip(NEXT) | instid1(VALU_DEP_1)
	v_trunc_f32_e32 v11, v11
	v_fmamk_f32 v7, v11, 0xcf800000, v7
	v_cvt_u32_f32_e32 v25, v11
	v_mov_b32_e32 v11, v10
	s_delay_alu instid0(VALU_DEP_3) | instskip(NEXT) | instid1(VALU_DEP_1)
	v_cvt_u32_f32_e32 v18, v7
	v_dual_mov_b32 v48, v25 :: v_dual_mov_b32 v24, v18
	v_sub_nc_u64_e32 v[22:23], 0, v[8:9]
	s_delay_alu instid0(VALU_DEP_1) | instskip(NEXT) | instid1(VALU_DEP_1)
	v_mul_u64_e32 v[26:27], v[22:23], v[24:25]
	v_dual_mov_b32 v38, v27 :: v_dual_mov_b32 v27, v10
	s_delay_alu instid0(VALU_DEP_1) | instskip(NEXT) | instid1(VALU_DEP_2)
	v_mul_u64_e32 v[50:51], v[18:19], v[38:39]
	v_mul_u64_e32 v[52:53], v[48:49], v[26:27]
	;; [unrolled: 1-line block ×3, first 2 shown]
	v_mul_hi_u32 v26, v18, v26
	s_delay_alu instid0(VALU_DEP_1) | instskip(SKIP_1) | instid1(VALU_DEP_2)
	v_add_nc_u64_e32 v[26:27], v[26:27], v[50:51]
	v_ashrrev_i32_e32 v50, 31, v35
	v_add_co_u32 v7, vcc_lo, v26, v52
	s_delay_alu instid0(VALU_DEP_3) | instskip(SKIP_1) | instid1(VALU_DEP_1)
	v_add_co_ci_u32_e32 v48, vcc_lo, v27, v53, vcc_lo
	v_add_co_ci_u32_e32 v39, vcc_lo, 0, v39, vcc_lo
	v_add_nc_u64_e32 v[26:27], v[48:49], v[38:39]
	s_delay_alu instid0(VALU_DEP_1) | instskip(NEXT) | instid1(VALU_DEP_1)
	v_add_co_u32 v18, vcc_lo, v18, v26
	v_add_co_ci_u32_e64 v24, null, v25, v27, vcc_lo
	v_dual_mov_b32 v27, v10 :: v_dual_mov_b32 v25, v10
	s_delay_alu instid0(VALU_DEP_2) | instskip(NEXT) | instid1(VALU_DEP_1)
	v_mov_b32_e32 v19, v24
	v_mul_u64_e32 v[22:23], v[22:23], v[18:19]
	s_delay_alu instid0(VALU_DEP_1) | instskip(NEXT) | instid1(VALU_DEP_2)
	v_dual_mov_b32 v19, v10 :: v_dual_mov_b32 v26, v23
	v_dual_mov_b32 v48, v22 :: v_dual_mov_b32 v23, v10
	v_mul_hi_u32 v22, v18, v22
	s_delay_alu instid0(VALU_DEP_3) | instskip(NEXT) | instid1(VALU_DEP_3)
	v_mul_u64_e32 v[38:39], v[18:19], v[26:27]
	v_mul_u64_e32 v[48:49], v[24:25], v[48:49]
	;; [unrolled: 1-line block ×3, first 2 shown]
	s_delay_alu instid0(VALU_DEP_3) | instskip(SKIP_1) | instid1(VALU_DEP_2)
	v_add_nc_u64_e32 v[22:23], v[22:23], v[38:39]
	v_dual_mov_b32 v39, v10 :: v_dual_mov_b32 v51, v50
	v_add_co_u32 v7, vcc_lo, v22, v48
	s_delay_alu instid0(VALU_DEP_3) | instskip(SKIP_1) | instid1(VALU_DEP_1)
	v_add_co_ci_u32_e32 v38, vcc_lo, v23, v49, vcc_lo
	v_add_co_ci_u32_e32 v27, vcc_lo, 0, v27, vcc_lo
	v_add_nc_u64_e32 v[26:27], v[38:39], v[26:27]
	s_delay_alu instid0(VALU_DEP_1) | instskip(NEXT) | instid1(VALU_DEP_1)
	v_add_co_u32 v26, vcc_lo, v18, v26
	v_add_co_ci_u32_e64 v18, null, v24, v27, vcc_lo
	v_mov_b32_e32 v27, v10
	v_add_nc_u64_e32 v[22:23], v[34:35], v[50:51]
	s_delay_alu instid0(VALU_DEP_1) | instskip(NEXT) | instid1(VALU_DEP_2)
	v_xor_b32_e32 v24, v23, v50
	v_xor_b32_e32 v38, v22, v50
	s_delay_alu instid0(VALU_DEP_2) | instskip(NEXT) | instid1(VALU_DEP_2)
	v_mul_u64_e32 v[22:23], v[24:25], v[26:27]
	v_mul_u64_e32 v[48:49], v[38:39], v[18:19]
	;; [unrolled: 1-line block ×3, first 2 shown]
	v_mul_hi_u32 v26, v38, v26
	s_delay_alu instid0(VALU_DEP_1) | instskip(NEXT) | instid1(VALU_DEP_1)
	v_add_nc_u64_e32 v[26:27], v[26:27], v[48:49]
	v_add_co_u32 v7, vcc_lo, v26, v22
	s_delay_alu instid0(VALU_DEP_2) | instskip(SKIP_1) | instid1(VALU_DEP_1)
	v_add_co_ci_u32_e32 v10, vcc_lo, v27, v23, vcc_lo
	v_add_co_ci_u32_e32 v19, vcc_lo, 0, v19, vcc_lo
	v_add_nc_u64_e32 v[10:11], v[10:11], v[18:19]
	s_delay_alu instid0(VALU_DEP_1) | instskip(SKIP_1) | instid1(VALU_DEP_2)
	v_mul_u64_e32 v[18:19], v[8:9], v[10:11]
	v_add_nc_u64_e32 v[22:23], 1, v[10:11]
	v_sub_nc_u32_e32 v7, v24, v19
	s_delay_alu instid0(VALU_DEP_3) | instskip(NEXT) | instid1(VALU_DEP_1)
	v_sub_co_u32 v17, vcc_lo, v38, v18
	v_sub_co_ci_u32_e64 v20, null, v24, v19, vcc_lo
	s_delay_alu instid0(VALU_DEP_3) | instskip(NEXT) | instid1(VALU_DEP_3)
	v_sub_co_ci_u32_e64 v7, null, v7, v9, vcc_lo
	v_sub_co_u32 v18, s0, v17, v8
	s_delay_alu instid0(VALU_DEP_1) | instskip(NEXT) | instid1(VALU_DEP_2)
	v_subrev_co_ci_u32_e64 v7, null, 0, v7, s0
	v_cmp_ge_u32_e32 vcc_lo, v18, v8
	v_cndmask_b32_e64 v18, 0, -1, vcc_lo
	s_delay_alu instid0(VALU_DEP_3)
	v_cmp_ge_u32_e32 vcc_lo, v7, v9
	v_cndmask_b32_e64 v19, 0, -1, vcc_lo
	v_cmp_ge_u32_e32 vcc_lo, v17, v8
	v_cndmask_b32_e64 v8, 0, -1, vcc_lo
	;; [unrolled: 2-line block ×3, first 2 shown]
	v_cmp_eq_u32_e32 vcc_lo, v7, v9
	v_cndmask_b32_e32 v7, v19, v18, vcc_lo
	v_cmp_eq_u32_e32 vcc_lo, v20, v9
	v_add_nc_u64_e32 v[18:19], 2, v[10:11]
	v_cndmask_b32_e32 v8, v17, v8, vcc_lo
	s_delay_alu instid0(VALU_DEP_4) | instskip(NEXT) | instid1(VALU_DEP_2)
	v_cmp_ne_u32_e32 vcc_lo, 0, v7
	v_cmp_ne_u32_e64 s0, 0, v8
	s_delay_alu instid0(VALU_DEP_4) | instskip(NEXT) | instid1(VALU_DEP_1)
	v_dual_cndmask_b32 v7, v23, v19 :: v_dual_cndmask_b32 v8, v22, v18
	v_dual_cndmask_b32 v9, v11, v7, s0 :: v_dual_bitop2_b32 v6, v50, v6 bitop3:0x14
	s_delay_alu instid0(VALU_DEP_1) | instskip(NEXT) | instid1(VALU_DEP_1)
	v_dual_cndmask_b32 v8, v10, v8, s0 :: v_dual_bitop2_b32 v9, v9, v6 bitop3:0x14
	v_dual_mov_b32 v7, v6 :: v_dual_bitop2_b32 v8, v8, v6 bitop3:0x14
	s_delay_alu instid0(VALU_DEP_1)
	v_sub_nc_u64_e32 v[50:51], v[8:9], v[6:7]
.LBB6_14:
	s_or_saveexec_b32 s0, s1
	v_mul_u64_e32 v[4:5], v[28:29], v[4:5]
	s_xor_b32 exec_lo, exec_lo, s0
	s_cbranch_execz .LBB6_16
; %bb.15:
	v_cvt_f32_u32_e32 v4, v36
	v_dual_mov_b32 v51, 0 :: v_dual_sub_nc_u32 v6, 0, v36
	s_delay_alu instid0(VALU_DEP_2) | instskip(SKIP_1) | instid1(TRANS32_DEP_1)
	v_rcp_iflag_f32_e32 v4, v4
	v_nop
	v_mul_f32_e32 v4, 0x4f7ffffe, v4
	s_delay_alu instid0(VALU_DEP_1) | instskip(NEXT) | instid1(VALU_DEP_1)
	v_cvt_u32_f32_e32 v4, v4
	v_mul_lo_u32 v6, v6, v4
	s_delay_alu instid0(VALU_DEP_1) | instskip(NEXT) | instid1(VALU_DEP_1)
	v_mul_hi_u32 v6, v4, v6
	v_add_nc_u32_e32 v4, v4, v6
	s_delay_alu instid0(VALU_DEP_1) | instskip(NEXT) | instid1(VALU_DEP_1)
	v_mul_hi_u32 v4, v34, v4
	v_mul_lo_u32 v6, v4, v36
	s_delay_alu instid0(VALU_DEP_1) | instskip(NEXT) | instid1(VALU_DEP_1)
	v_dual_add_nc_u32 v7, 1, v4 :: v_dual_sub_nc_u32 v6, v34, v6
	v_cmp_ge_u32_e32 vcc_lo, v6, v36
	s_delay_alu instid0(VALU_DEP_2) | instskip(NEXT) | instid1(VALU_DEP_1)
	v_cndmask_b32_e32 v4, v4, v7, vcc_lo
	v_add_nc_u32_e32 v7, 1, v4
	v_sub_nc_u32_e32 v8, v6, v36
	s_delay_alu instid0(VALU_DEP_1) | instskip(NEXT) | instid1(VALU_DEP_1)
	v_cndmask_b32_e32 v6, v6, v8, vcc_lo
	v_cmp_ge_u32_e32 vcc_lo, v6, v36
	s_delay_alu instid0(VALU_DEP_4)
	v_cndmask_b32_e32 v50, v4, v7, vcc_lo
.LBB6_16:
	s_or_b32 exec_lo, exec_lo, s0
	s_trap 2
	ds_load_b64 v[6:7], v0
	v_mul_lo_u32 v4, v5, v16
	s_mov_b32 s3, 0
	s_mov_b32 s4, exec_lo
	s_delay_alu instid0(VALU_DEP_1) | instskip(SKIP_4) | instid1(VALU_DEP_2)
	v_sub_nc_u32_e32 v8, v28, v4
	s_wait_dscnt 0x0
	v_cmp_ne_u32_e32 vcc_lo, -1, v6
	v_cndmask_b32_e64 v30, 0, 1, vcc_lo
	v_cmp_ne_u32_e32 vcc_lo, -1, v7
	v_add_co_ci_u32_e64 v4, null, 0, v30, vcc_lo
	s_delay_alu instid0(VALU_DEP_1) | instskip(SKIP_2) | instid1(VALU_DEP_1)
	v_lshlrev_b32_e32 v7, 1, v4
	v_sub_nc_u32_e32 v6, v8, v16
	v_cmp_ge_u32_e64 s1, v8, v16
	v_cndmask_b32_e64 v6, v8, v6, s1
	s_delay_alu instid0(VALU_DEP_1)
	v_cmp_ge_u32_e64 s0, v6, v16
	v_cmpx_le_u32_e64 v7, v1
	s_xor_b32 s17, exec_lo, s4
	s_cbranch_execz .LBB6_649
; %bb.17:
	flat_load_b128 v[8:11], v[2:3] offset:16
	s_trap 2
	s_load_b32 s2, s[8:9], 0x0
	s_bfe_u32 s4, ttmp6, 0x4000c
	s_and_b32 s5, ttmp6, 15
	s_add_co_i32 s4, s4, 1
	s_getreg_b32 s6, hwreg(HW_REG_IB_STS2, 6, 4)
	s_mul_i32 s4, ttmp9, s4
	v_dual_mov_b32 v39, 0 :: v_dual_add_nc_u32 v6, 1, v5
	s_add_co_i32 s5, s5, s4
	s_cmp_eq_u32 s6, 0
	v_ashrrev_i32_e32 v33, 31, v15
	s_cselect_b32 s4, ttmp9, s5
	v_cndmask_b32_e64 v5, v5, v6, s1
	v_bfe_i32 v6, v21, 30, 1
	v_cvt_f32_u32_e32 v16, v21
	v_mov_b32_e32 v82, 4
	s_mov_b32 s1, exec_lo
	s_delay_alu instid0(VALU_DEP_3) | instskip(SKIP_3) | instid1(VALU_DEP_1)
	v_dual_add_nc_u32 v7, 1, v5 :: v_dual_bitop2_b32 v6, v33, v6 bitop3:0x14
	s_wait_kmcnt 0x0
	s_cmp_lt_u32 s4, s2
	s_cselect_b32 s2, 12, 18
	v_cndmask_b32_e64 v5, v5, v7, s0
	s_add_nc_u64 s[2:3], s[8:9], s[2:3]
	v_rcp_iflag_f32_e32 v7, v16
	global_load_u16 v55, v39, s[2:3]
	ds_load_b32 v16, v0
	v_xor_b32_e32 v5, v5, v6
	s_delay_alu instid0(VALU_DEP_1) | instskip(SKIP_1) | instid1(VALU_DEP_2)
	v_dual_mul_f32 v5, 0x4f7ffffe, v7 :: v_dual_sub_nc_u32 v54, v5, v6
	v_sub_nc_u32_e32 v6, 0, v21
	v_mul_lo_u32 v7, v54, v14
	s_delay_alu instid0(VALU_DEP_3) | instskip(NEXT) | instid1(VALU_DEP_1)
	v_cvt_u32_f32_e32 v5, v5
	v_mul_lo_u32 v6, v6, v5
	s_wait_dscnt 0x0
	v_readfirstlane_b32 s5, v16
	s_delay_alu instid0(VALU_DEP_4)
	v_sub_nc_u32_e32 v64, v15, v7
	s_wait_xcnt 0x0
	v_cmpx_ge_i32_e64 v0, v30
	s_cbranch_execz .LBB6_27
; %bb.18:
	v_cmp_ge_u32_e64 s0, v0, v4
                                        ; implicit-def: $vgpr82
	s_and_saveexec_b32 s2, s0
	s_delay_alu instid0(SALU_CYCLE_1)
	s_xor_b32 s0, exec_lo, s2
	s_cbranch_execz .LBB6_24
; %bb.19:
	v_cndmask_b32_e64 v7, 0, 1, vcc_lo
	s_mov_b32 s2, exec_lo
	s_delay_alu instid0(VALU_DEP_1) | instskip(NEXT) | instid1(VALU_DEP_1)
	v_sub_nc_u32_e32 v7, v1, v7
	v_cmpx_ge_u32_e64 v0, v7
	s_xor_b32 s2, exec_lo, s2
; %bb.20:
                                        ; implicit-def: $vgpr4
; %bb.21:
	s_delay_alu instid0(SALU_CYCLE_1)
	s_or_saveexec_b32 s2, s2
	v_mov_b32_e32 v82, 16
	s_xor_b32 exec_lo, exec_lo, s2
; %bb.22:
	v_sub_nc_u32_e32 v4, v1, v4
	s_delay_alu instid0(VALU_DEP_1)
	v_cmp_lt_i32_e32 vcc_lo, v0, v4
	v_cndmask_b32_e64 v82, 32, 0, vcc_lo
; %bb.23:
	s_or_b32 exec_lo, exec_lo, s2
.LBB6_24:
	s_and_not1_saveexec_b32 s0, s0
; %bb.25:
	v_mov_b32_e32 v82, 8
; %bb.26:
	s_or_b32 exec_lo, exec_lo, s0
.LBB6_27:
	s_delay_alu instid0(SALU_CYCLE_1) | instskip(SKIP_1) | instid1(VALU_DEP_2)
	s_or_b32 exec_lo, exec_lo, s1
	v_mul_hi_u32 v4, v5, v6
	v_dual_sub_nc_u32 v7, 0, v64 :: v_dual_bitop2_b32 v6, 36, v82 bitop3:0x40
	v_mov_b32_e32 v65, -1
	s_delay_alu instid0(VALU_DEP_2)
	v_cmp_ne_u32_e32 vcc_lo, 0, v6
	s_and_saveexec_b32 s0, vcc_lo
	s_cbranch_execz .LBB6_29
; %bb.28:
	s_trap 2
	ds_load_b32 v65, v0
.LBB6_29:
	s_or_b32 exec_lo, exec_lo, s0
	s_delay_alu instid0(VALU_DEP_4) | instskip(SKIP_2) | instid1(VALU_DEP_2)
	v_dual_add_nc_u32 v6, v5, v4 :: v_dual_bitop2_b32 v14, 24, v82 bitop3:0x40
	v_max_i32_e32 v38, v64, v7
	s_mov_b32 s1, exec_lo
	v_cmpx_ne_u32_e32 0, v14
	s_cbranch_execz .LBB6_31
; %bb.30:
	s_trap 2
	s_wait_dscnt 0x0
	ds_load_b32 v65, v0
.LBB6_31:
	s_or_b32 exec_lo, exec_lo, s1
	v_mov_b64_e32 v[16:17], 0
	v_mov_b64_e32 v[4:5], 0
	v_mov_b32_e32 v7, v29
                                        ; implicit-def: $vgpr14_vgpr15
                                        ; implicit-def: $vgpr20
                                        ; implicit-def: $vgpr26_vgpr27
                                        ; implicit-def: $vgpr84_vgpr85
                                        ; implicit-def: $vgpr22_vgpr23
                                        ; implicit-def: $vgpr18_vgpr19
	s_and_saveexec_b32 s0, vcc_lo
	s_cbranch_execz .LBB6_41
; %bb.32:
	s_trap 2
	ds_load_b64 v[4:5], v0
	s_mov_b32 s1, exec_lo
                                        ; implicit-def: $vgpr14_vgpr15
	s_wait_dscnt 0x0
	v_readfirstlane_b32 s2, v4
	v_readfirstlane_b32 s3, v5
	flat_load_b64 v[24:25], v65, s[2:3] scale_offset
	s_wait_loadcnt_dscnt 0x0
	flat_load_b32 v4, v[24:25] offset:640
	s_wait_loadcnt_dscnt 0x0
	v_cmpx_eq_u32_e32 1, v4
	s_cbranch_execz .LBB6_34
; %bb.33:
	flat_load_b64 v[14:15], v[24:25] offset:648
	v_or_b32_e32 v82, 0x2000, v82
	s_wait_loadcnt_dscnt 0x0
	flat_load_b64 v[4:5], v[14:15]
	s_trap 2
	s_wait_loadcnt_dscnt 0x0
	ds_store_b64 v0, v[4:5]
	flat_load_b64 v[4:5], v[14:15] offset:8
	s_wait_loadcnt_dscnt 0x0
	ds_store_b64 v0, v[4:5]
	flat_load_b64 v[4:5], v[14:15] offset:16
	s_wait_loadcnt_dscnt 0x0
	ds_store_b64 v0, v[4:5]
.LBB6_34:
	s_wait_xcnt 0x0
	s_or_b32 exec_lo, exec_lo, s1
	flat_load_b64 v[4:5], v[24:25] offset:608
	s_mov_b32 s1, exec_lo
                                        ; implicit-def: $vgpr18_vgpr19
	s_wait_loadcnt_dscnt 0x0
	v_add_nc_u64_e32 v[84:85], 3, v[4:5]
	v_and_b32_e32 v4, 32, v82
	s_delay_alu instid0(VALU_DEP_2) | instskip(SKIP_1) | instid1(VALU_DEP_2)
	v_and_b32_e32 v84, -4, v84
	s_wait_xcnt 0x0
	v_cmpx_ne_u32_e32 0, v4
	s_cbranch_execz .LBB6_36
; %bb.35:
	flat_load_b64 v[18:19], v[24:25] offset:560
	global_wb scope:SCOPE_SYS
	s_wait_storecnt 0x0
	s_wait_xcnt 0x0
	s_wait_loadcnt_dscnt 0x0
	flat_store_b64 v[18:19], v[84:85] scope:SCOPE_SYS
.LBB6_36:
	s_wait_xcnt 0x0
	s_or_b32 exec_lo, exec_lo, s1
	v_and_b32_e32 v20, 4, v82
	v_add_nc_u64_e32 v[16:17], 0x1f8, v[24:25]
	v_mov_b64_e32 v[4:5], 0
                                        ; implicit-def: $vgpr26_vgpr27
                                        ; implicit-def: $vgpr22_vgpr23
	s_delay_alu instid0(VALU_DEP_3)
	v_cmp_ne_u32_e32 vcc_lo, 0, v20
                                        ; implicit-def: $vgpr20
	s_and_saveexec_b32 s1, vcc_lo
	s_cbranch_execz .LBB6_40
; %bb.37:
	v_and_b32_e32 v4, 0x800, v82
	s_mov_b32 s2, exec_lo
	s_delay_alu instid0(VALU_DEP_1)
	v_cmpx_eq_u32_e32 0, v4
	s_cbranch_execz .LBB6_39
; %bb.38:
	s_trap 2
	ds_store_b64 v0, v[16:17]
.LBB6_39:
	s_or_b32 exec_lo, exec_lo, s2
	flat_load_b64 v[18:19], v[24:25] offset:552
	s_wait_loadcnt_dscnt 0x0
	flat_load_b64 v[26:27], v[18:19] scope:SCOPE_SYS
	s_clause 0x2
	flat_load_b64 v[4:5], v[24:25] offset:600
	flat_load_b32 v20, v[24:25] offset:576
	flat_load_b64 v[22:23], v[24:25] offset:520
	s_wait_xcnt 0x0
	v_or_b32_e32 v24, 0x100, v82
	s_wait_loadcnt_dscnt 0x202
	v_cmp_eq_u64_e32 vcc_lo, 0, v[4:5]
	s_delay_alu instid0(VALU_DEP_2)
	v_cndmask_b32_e32 v82, v24, v82, vcc_lo
.LBB6_40:
	s_or_b32 exec_lo, exec_lo, s1
.LBB6_41:
	s_delay_alu instid0(SALU_CYCLE_1) | instskip(NEXT) | instid1(VALU_DEP_1)
	s_or_b32 exec_lo, exec_lo, s0
	v_mul_u64_e32 v[52:53], v[28:29], v[6:7]
	v_mul_u64_e32 v[48:49], v[38:39], v[6:7]
	v_dual_ashrrev_i32 v39, 31, v64 :: v_dual_bitop2_b32 v6, 24, v82 bitop3:0x40
	s_mov_b32 s0, exec_lo
                                        ; implicit-def: $vgpr24_vgpr25
	s_delay_alu instid0(VALU_DEP_1)
	v_cmpx_ne_u32_e32 0, v6
	s_cbranch_execz .LBB6_49
; %bb.42:
	s_trap 2
	ds_load_b64 v[4:5], v0
	v_or_b32_e32 v24, 0x100, v82
	s_wait_dscnt 0x0
	v_readfirstlane_b32 s2, v4
	v_readfirstlane_b32 s3, v5
	flat_load_b64 v[16:17], v65, s[2:3] scale_offset
	s_wait_loadcnt_dscnt 0x0
	flat_load_b128 v[4:7], v[16:17] offset:96
	s_wait_loadcnt_dscnt 0x0
	v_cmp_eq_u64_e32 vcc_lo, 0, v[4:5]
	v_cndmask_b32_e32 v82, v24, v82, vcc_lo
	s_delay_alu instid0(VALU_DEP_1) | instskip(NEXT) | instid1(VALU_DEP_1)
	v_and_b32_e32 v24, 16, v82
	v_cmp_ne_u32_e32 vcc_lo, 0, v24
                                        ; implicit-def: $vgpr24_vgpr25
	s_wait_xcnt 0x0
	s_and_saveexec_b32 s1, vcc_lo
	s_cbranch_execz .LBB6_44
; %bb.43:
	s_clause 0x2
	flat_load_b64 v[18:19], v[16:17] offset:48
	flat_load_b64 v[24:25], v[16:17] offset:120
	flat_load_b64 v[22:23], v[16:17] offset:16
.LBB6_44:
	s_wait_xcnt 0x0
	s_or_b32 exec_lo, exec_lo, s1
	v_add_nc_u64_e32 v[84:85], 3, v[6:7]
	v_and_b32_e32 v6, 8, v82
	s_mov_b32 s1, exec_lo
	s_delay_alu instid0(VALU_DEP_2) | instskip(NEXT) | instid1(VALU_DEP_2)
	v_and_b32_e32 v84, -4, v84
	v_cmpx_ne_u32_e32 0, v6
	s_cbranch_execz .LBB6_48
; %bb.45:
	v_and_b32_e32 v6, 0x800, v82
	s_mov_b32 s2, exec_lo
	s_delay_alu instid0(VALU_DEP_1)
	v_cmpx_eq_u32_e32 0, v6
	s_cbranch_execz .LBB6_47
; %bb.46:
	s_trap 2
	ds_store_b64 v0, v[16:17]
.LBB6_47:
	s_or_b32 exec_lo, exec_lo, s2
	s_wait_loadcnt_dscnt 0x202
	flat_load_b64 v[18:19], v[16:17] offset:56
	s_wait_loadcnt_dscnt 0x0
	flat_load_b64 v[26:27], v[18:19] scope:SCOPE_SYS
	s_clause 0x1
	flat_load_b32 v20, v[16:17] offset:72
	flat_load_b64 v[22:23], v[16:17] offset:16
.LBB6_48:
	s_wait_xcnt 0x0
	s_or_b32 exec_lo, exec_lo, s1
.LBB6_49:
	s_delay_alu instid0(SALU_CYCLE_1)
	s_or_b32 exec_lo, exec_lo, s0
	v_cmp_eq_u32_e64 s0, 0, v0
	s_and_saveexec_b32 s1, s0
	s_cbranch_execz .LBB6_51
; %bb.50:
	s_wait_loadcnt 0x1
	v_dual_mov_b32 v6, v10 :: v_dual_mov_b32 v7, v11
	v_mov_b64_e32 v[10:11], 0
	ds_store_2addr_b64 v0, v[6:7], v[8:9] offset1:1
	s_trap 2
	ds_store_b64 v0, v[10:11]
.LBB6_51:
	s_or_b32 exec_lo, exec_lo, s1
	s_wait_loadcnt 0x1
	v_mov_b64_e32 v[10:11], 0
	s_wait_loadcnt 0x0
	v_and_b32_e32 v56, 0xffff, v55
	v_cmp_ne_u32_e64 s1, 32, v1
	s_cmp_lt_i32 s16, -1
	s_mov_b32 s18, -1
	s_cbranch_scc1 .LBB6_615
; %bb.52:
	v_mul_u64_e32 v[8:9], v[50:51], v[36:37]
	v_mul_lo_u32 v6, v53, v21
	s_mov_b32 s13, 0
	s_abs_i32 s19, s16
	s_lshr_b32 s6, s16, 31
	s_cvt_f32_u32 s11, s19
	s_ashr_i32 s7, s5, 31
	s_add_co_i32 s6, s16, s6
	s_lshr_b32 s7, s7, 25
	v_rcp_iflag_f32_e32 v71, s11
	s_ashr_i32 s20, s6, 1
	s_delay_alu instid0(VALU_DEP_1) | instskip(SKIP_3) | instid1(TRANS32_DEP_1)
	v_dual_mov_b32 v11, s13 :: v_dual_sub_nc_u32 v6, v28, v6
	s_add_co_i32 s6, s5, s7
	s_sub_co_i32 s12, 0, s19
	v_cmp_eq_u32_e64 s10, 32, v1
	v_readfirstlane_b32 s5, v71
	v_cmp_ge_u32_e32 vcc_lo, v6, v21
	s_wait_dscnt 0x1
	v_cmp_eq_u64_e64 s3, 0, v[24:25]
	v_cmp_ne_u64_e64 s4, 0, v[24:25]
	v_and_b32_e32 v32, 0x3ffffe00, v32
	s_mul_f32 s7, s5, 0x4f7ffffe
	v_cmp_ne_u32_e64 s2, v1, v56
	s_ashr_i32 s21, s6, 7
	v_mov_b32_e32 v59, 0x88
	s_cvt_u32_f32 s14, s7
	s_mov_b32 s15, s13
	s_xor_b32 s22, s10, -1
	s_mov_b32 s23, 0
	s_mul_i32 s12, s12, s14
	s_trap 2
	s_mul_hi_u32 s12, s14, s12
	v_sub_nc_u64_e32 v[8:9], v[34:35], v[8:9]
	v_sub_nc_u32_e32 v7, v6, v21
	s_add_co_i32 s14, s14, s12
	v_dual_add_nc_u32 v9, 1, v49 :: v_dual_mov_b32 v35, 0
	s_delay_alu instid0(VALU_DEP_2) | instskip(SKIP_1) | instid1(VALU_DEP_3)
	v_dual_mov_b32 v57, 1 :: v_dual_cndmask_b32 v6, v6, v7
	v_dual_ashrrev_i32 v34, 31, v0 :: v_dual_lshrrev_b32 v36, 5, v1
	v_dual_mov_b32 v37, v35 :: v_dual_bitop2_b32 v70, 31, v31 bitop3:0x40
	s_delay_alu instid0(VALU_DEP_3) | instskip(SKIP_1) | instid1(VALU_DEP_4)
	v_sub_nc_u32_e32 v7, v6, v21
	v_cmp_ge_u32_e32 vcc_lo, v6, v21
	v_lshrrev_b32_e32 v64, 27, v34
	s_delay_alu instid0(VALU_DEP_4) | instskip(NEXT) | instid1(VALU_DEP_4)
	v_cmp_eq_u32_e64 s5, 0, v70
	v_cndmask_b32_e32 v6, v6, v7, vcc_lo
	v_mul_lo_u32 v7, v49, v21
	s_delay_alu instid0(VALU_DEP_1) | instskip(NEXT) | instid1(VALU_DEP_3)
	v_sub_nc_u32_e32 v7, v38, v7
	v_xor_b32_e32 v6, v6, v33
	v_and_b32_e32 v38, 0x1fe0, v1
	s_delay_alu instid0(VALU_DEP_2) | instskip(NEXT) | instid1(VALU_DEP_1)
	v_sub_nc_u32_e32 v6, v6, v33
	v_mad_u32 v6, v54, v21, v6
	v_lshlrev_b32_e32 v54, 10, v36
	s_delay_alu instid0(VALU_DEP_2) | instskip(SKIP_2) | instid1(VALU_DEP_2)
	v_cmp_lt_i32_e32 vcc_lo, v6, v8
	v_cndmask_b32_e64 v10, 0, 1, vcc_lo
	v_cmp_ge_u32_e32 vcc_lo, v7, v21
	v_add_nc_u64_e32 v[10:11], v[50:51], v[10:11]
	v_cndmask_b32_e32 v9, v49, v9, vcc_lo
	v_sub_nc_u32_e32 v33, v7, v21
	v_mov_b64_e32 v[48:49], 0
	s_delay_alu instid0(VALU_DEP_4) | instskip(NEXT) | instid1(VALU_DEP_3)
	v_mul_u64_e32 v[28:29], v[10:11], v[66:67]
	v_cndmask_b32_e32 v7, v7, v33, vcc_lo
	v_dual_mov_b32 v33, v35 :: v_dual_add_nc_u32 v10, 1, v9
	s_delay_alu instid0(VALU_DEP_2) | instskip(NEXT) | instid1(VALU_DEP_2)
	v_cmp_ge_u32_e32 vcc_lo, v7, v21
	v_dual_ashrrev_i32 v21, 31, v20 :: v_dual_cndmask_b32 v7, v9, v10, vcc_lo
	v_ashrrev_i32_e32 v9, 31, v8
	v_cmp_ge_i32_e32 vcc_lo, v0, v1
	s_delay_alu instid0(VALU_DEP_3) | instskip(NEXT) | instid1(VALU_DEP_1)
	v_dual_ashrrev_i32 v7, 31, v6 :: v_dual_bitop2_b32 v10, v7, v39 bitop3:0x14
	v_sub_nc_u32_e32 v80, v10, v39
	s_delay_alu instid0(VALU_DEP_2)
	v_min_i64 v[52:53], v[6:7], v[8:9]
	v_min_i32_e32 v8, v6, v8
	v_mul_lo_u32 v39, v51, v6
	v_mul_lo_u32 v55, v50, v7
	v_ashrrev_i32_e32 v81, 31, v80
	v_cmp_eq_u32_e64 s11, 0, v80
	v_ashrrev_i32_e32 v9, 31, v8
	v_mov_b64_e32 v[10:11], 0
	v_mov_b32_e32 v51, v35
	v_mul_u64_e32 v[68:69], v[28:29], v[80:81]
	s_delay_alu instid0(VALU_DEP_4) | instskip(SKIP_1) | instid1(VALU_DEP_2)
	v_mad_nc_u64_u32 v[8:9], v50, v6, v[8:9]
	v_add_nc_u32_e32 v81, v0, v64
	v_add3_u32 v9, v39, v9, v55
	s_wait_dscnt 0x0
	s_delay_alu instid0(VALU_DEP_1) | instskip(SKIP_3) | instid1(VALU_DEP_3)
	v_mul_u64_e32 v[64:65], v[8:9], v[66:67]
	v_mad_nc_u64_u32 v[6:7], v50, v6, v[52:53]
	v_dual_lshlrev_b32 v50, 12, v36 :: v_dual_lshlrev_b32 v52, 9, v36
	v_dual_mov_b32 v53, v35 :: v_dual_lshrrev_b32 v34, 31, v69
	v_add3_u32 v7, v39, v7, v55
	v_mov_b32_e32 v55, v35
	s_delay_alu instid0(VALU_DEP_3) | instskip(NEXT) | instid1(VALU_DEP_3)
	v_add_nc_u64_e32 v[8:9], v[68:69], v[34:35]
	v_mul_u64_e32 v[66:67], v[6:7], v[66:67]
	v_lshrrev_b32_e32 v34, 31, v29
	v_and_b32_e32 v68, 0xffffffe0, v81
	v_mov_b32_e32 v39, v35
	s_delay_alu instid0(VALU_DEP_3) | instskip(NEXT) | instid1(VALU_DEP_3)
	v_add_nc_u64_e32 v[6:7], v[28:29], v[34:35]
	v_dual_sub_nc_u32 v58, v0, v68 :: v_dual_ashrrev_i32 v68, 5, v81
	v_ashrrev_i64 v[80:81], 1, v[8:9]
	s_delay_alu instid0(VALU_DEP_2) | instskip(NEXT) | instid1(VALU_DEP_4)
	v_lshlrev_b32_e32 v34, 4, v58
	v_ashrrev_i64 v[6:7], 1, v[6:7]
	v_cmp_gt_i32_e64 s6, 1, v58
	v_cmp_lt_i32_e64 s7, v58, v30
	s_delay_alu instid0(VALU_DEP_4) | instskip(SKIP_2) | instid1(VALU_DEP_1)
	v_lshl_add_u32 v70, v68, 12, v34
	v_ashrrev_i32_e32 v69, 31, v68
	v_sub_nc_u64_e32 v[86:87], v[28:29], v[6:7]
	v_dual_ashrrev_i32 v71, 31, v70 :: v_dual_cndmask_b32 v83, v87, v7, s11
	s_delay_alu instid0(VALU_DEP_2)
	v_cndmask_b32_e64 v30, v86, v6, s11
	s_xor_b32 s11, vcc_lo, -1
.LBB6_53:                               ; =>This Loop Header: Depth=1
                                        ;     Child Loop BB6_62 Depth 2
                                        ;     Child Loop BB6_69 Depth 2
	;; [unrolled: 1-line block ×5, first 2 shown]
                                        ;       Child Loop BB6_93 Depth 3
                                        ;         Child Loop BB6_101 Depth 4
                                        ;         Child Loop BB6_125 Depth 4
	;; [unrolled: 1-line block ×8, first 2 shown]
                                        ;       Child Loop BB6_214 Depth 3
                                        ;         Child Loop BB6_220 Depth 4
                                        ;         Child Loop BB6_244 Depth 4
                                        ;       Child Loop BB6_265 Depth 3
                                        ;         Child Loop BB6_268 Depth 4
                                        ;           Child Loop BB6_276 Depth 5
                                        ;           Child Loop BB6_304 Depth 5
	;; [unrolled: 1-line block ×8, first 2 shown]
                                        ;         Child Loop BB6_393 Depth 4
                                        ;           Child Loop BB6_399 Depth 5
                                        ;           Child Loop BB6_427 Depth 5
                                        ;       Child Loop BB6_447 Depth 3
                                        ;         Child Loop BB6_455 Depth 4
                                        ;         Child Loop BB6_479 Depth 4
	;; [unrolled: 1-line block ×8, first 2 shown]
                                        ;       Child Loop BB6_566 Depth 3
                                        ;         Child Loop BB6_572 Depth 4
                                        ;         Child Loop BB6_596 Depth 4
	s_sub_co_i32 s10, s16, s23
	s_trap 2
	s_abs_i32 s12, s10
	ds_load_b64 v[6:7], v0
	s_mul_u64 s[24:25], s[12:13], s[14:15]
	s_ashr_i32 s10, s10, 31
	s_mul_i32 s24, s25, s19
	s_delay_alu instid0(SALU_CYCLE_1) | instskip(NEXT) | instid1(SALU_CYCLE_1)
	s_sub_co_i32 s12, s12, s24
	s_sub_co_i32 s24, s12, s19
	s_cmp_ge_u32 s12, s19
	s_cselect_b32 s12, s24, s12
	s_delay_alu instid0(SALU_CYCLE_1) | instskip(SKIP_2) | instid1(SALU_CYCLE_1)
	s_sub_co_i32 s24, s12, s19
	s_cmp_ge_u32 s12, s19
	s_cselect_b32 s12, s24, s12
	s_xor_b32 s12, s12, s10
	s_delay_alu instid0(SALU_CYCLE_1)
	s_sub_co_i32 s10, s12, s10
	v_mov_b32_e32 v8, s23
	s_wait_dscnt 0x0
	v_readfirstlane_b32 s24, v6
	v_readfirstlane_b32 s25, v7
	v_mov_b32_e32 v7, s10
	s_cmp_lg_u32 s23, 0
	s_clause 0x1
	flat_load_b32 v6, v8, s[24:25] scale_offset
	flat_load_b32 v8, v7, s[24:25] scale_offset
	s_wait_xcnt 0x0
	s_cselect_b32 s24, -1, 0
	s_wait_loadcnt_dscnt 0x0
	v_dual_ashrrev_i32 v7, 31, v6 :: v_dual_ashrrev_i32 v9, 31, v8
	v_cmp_eq_u32_e32 vcc_lo, v8, v6
	s_delay_alu instid0(VALU_DEP_2) | instskip(NEXT) | instid1(VALU_DEP_3)
	v_mul_u64_e32 v[100:101], v[12:13], v[6:7]
	v_mul_u64_e32 v[102:103], v[12:13], v[8:9]
	v_dual_cndmask_b32 v113, 0, v81 :: v_dual_cndmask_b32 v112, 0, v80
	v_dual_cndmask_b32 v87, v29, v83 :: v_dual_cndmask_b32 v86, v28, v30
	s_and_b32 vcc_lo, exec_lo, s24
	s_delay_alu instid0(VALU_DEP_4) | instskip(NEXT) | instid1(VALU_DEP_4)
	v_add_nc_u64_e32 v[6:7], v[100:101], v[64:65]
	v_add_nc_u64_e32 v[8:9], v[102:103], v[64:65]
	s_delay_alu instid0(VALU_DEP_2) | instskip(NEXT) | instid1(VALU_DEP_2)
	v_add_nc_u64_e32 v[96:97], v[6:7], v[112:113]
	v_add_nc_u64_e32 v[98:99], v[8:9], v[112:113]
	s_cbranch_vccz .LBB6_55
; %bb.54:                               ;   in Loop: Header=BB6_53 Depth=1
	s_and_saveexec_b32 s12, s24
	s_cbranch_execnz .LBB6_85
	s_branch .LBB6_613
.LBB6_55:                               ;   in Loop: Header=BB6_53 Depth=1
	flat_load_b128 v[6:9], v[2:3] offset:16
	s_mov_b32 s24, -1
	s_mov_b32 s10, exec_lo
	s_wait_loadcnt_dscnt 0x0
	v_cmpx_ne_u64_e64 v[8:9], v[6:7]
	s_cbranch_execz .LBB6_84
; %bb.56:                               ;   in Loop: Header=BB6_53 Depth=1
	s_mov_b32 s24, 0
	s_and_saveexec_b32 s12, s6
; %bb.57:                               ;   in Loop: Header=BB6_53 Depth=1
	v_dual_add_nc_u32 v34, v8, v96 :: v_dual_add_nc_u32 v114, v6, v98
	s_delay_alu instid0(VALU_DEP_1) | instskip(NEXT) | instid1(VALU_DEP_1)
	v_bitop3_b32 v34, v34, 15, v114 bitop3:0xc8
	v_cmp_ne_u32_e32 vcc_lo, 0, v34
	s_and_b32 s24, vcc_lo, exec_lo
; %bb.58:                               ;   in Loop: Header=BB6_53 Depth=1
	s_or_b32 exec_lo, exec_lo, s12
	v_cndmask_b32_e64 v34, 0, 1, s24
	s_delay_alu instid0(VALU_DEP_1)
	v_cmp_ne_u32_e32 vcc_lo, 0, v34
	s_cbranch_vccz .LBB6_60
; %bb.59:                               ;   in Loop: Header=BB6_53 Depth=1
	v_mov_b64_e32 v[114:115], 0
	v_mov_b64_e32 v[116:117], v[86:87]
	v_dual_mov_b32 v60, v0 :: v_dual_mov_b32 v42, v68
	v_mov_b64_e32 v[44:45], v[68:69]
	s_mov_b32 s24, -1
	s_delay_alu instid0(SALU_CYCLE_1)
	s_and_saveexec_b32 s12, s24
	s_cbranch_execnz .LBB6_75
	s_branch .LBB6_83
.LBB6_60:                               ;   in Loop: Header=BB6_53 Depth=1
	v_ashrrev_i32_e32 v34, 31, v87
	s_mov_b32 s12, exec_lo
	s_delay_alu instid0(VALU_DEP_1) | instskip(NEXT) | instid1(VALU_DEP_1)
	v_lshrrev_b32_e32 v34, 20, v34
	v_add_nc_u64_e32 v[114:115], v[86:87], v[34:35]
	s_delay_alu instid0(VALU_DEP_1) | instskip(NEXT) | instid1(VALU_DEP_1)
	v_ashrrev_i64 v[114:115], 12, v[114:115]
	v_sub_nc_u64_e32 v[118:119], v[114:115], v[68:69]
	s_delay_alu instid0(VALU_DEP_1)
	v_cmpx_lt_i64_e32 0, v[118:119]
	s_cbranch_execz .LBB6_64
; %bb.61:                               ;   in Loop: Header=BB6_53 Depth=1
	v_add_nc_u64_e32 v[116:117], v[66:67], v[112:113]
	s_mov_b32 s24, 0
	s_delay_alu instid0(VALU_DEP_1) | instskip(SKIP_1) | instid1(VALU_DEP_2)
	v_add_nc_u64_e32 v[40:41], v[116:117], v[8:9]
	v_add_nc_u64_e32 v[42:43], v[116:117], v[6:7]
	;; [unrolled: 1-line block ×3, first 2 shown]
	s_delay_alu instid0(VALU_DEP_2)
	v_add_nc_u64_e32 v[40:41], v[42:43], v[102:103]
.LBB6_62:                               ;   Parent Loop BB6_53 Depth=1
                                        ; =>  This Inner Loop Header: Depth=2
	s_delay_alu instid0(VALU_DEP_2)
	v_add_nc_u64_e32 v[46:47], v[70:71], v[116:117]
	v_sub_nc_u64_e32 v[118:119], v[118:119], v[36:37]
	v_add_nc_u64_e32 v[116:117], v[116:117], v[50:51]
	s_clause 0x7
	global_load_b128 v[42:45], v[46:47], off th:TH_LOAD_NT
	global_load_b128 v[60:63], v[46:47], off offset:512 th:TH_LOAD_NT
	global_load_b128 v[72:75], v[46:47], off offset:1024 th:TH_LOAD_NT
	;; [unrolled: 1-line block ×7, first 2 shown]
	v_cmp_gt_i64_e32 vcc_lo, 1, v[118:119]
	s_wait_xcnt 0x0
	v_add_nc_u64_e32 v[46:47], v[70:71], v[40:41]
	v_add_nc_u64_e32 v[40:41], v[40:41], v[50:51]
	s_wait_loadcnt 0x7
	global_store_b128 v[46:47], v[42:45], off th:TH_STORE_NT
	s_wait_loadcnt 0x6
	global_store_b128 v[46:47], v[60:63], off offset:512 th:TH_STORE_NT
	s_wait_loadcnt 0x5
	global_store_b128 v[46:47], v[72:75], off offset:1024 th:TH_STORE_NT
	;; [unrolled: 2-line block ×7, first 2 shown]
	s_or_b32 s24, vcc_lo, s24
	s_wait_xcnt 0x0
	s_and_not1_b32 exec_lo, exec_lo, s24
	s_cbranch_execnz .LBB6_62
; %bb.63:                               ;   in Loop: Header=BB6_53 Depth=1
	s_or_b32 exec_lo, exec_lo, s24
.LBB6_64:                               ;   in Loop: Header=BB6_53 Depth=1
	s_delay_alu instid0(SALU_CYCLE_1) | instskip(SKIP_4) | instid1(VALU_DEP_2)
	s_or_b32 exec_lo, exec_lo, s12
	v_lshlrev_b64_e32 v[40:41], 12, v[114:115]
	v_mov_b64_e32 v[114:115], 0
	s_mov_b32 s24, 0
	s_mov_b32 s12, exec_lo
                                        ; implicit-def: $vgpr116_vgpr117
                                        ; implicit-def: $vgpr60
                                        ; implicit-def: $vgpr42
                                        ; implicit-def: $vgpr44_vgpr45
	v_cmpx_ne_u64_e64 v[86:87], v[40:41]
	s_cbranch_execz .LBB6_74
; %bb.65:                               ;   in Loop: Header=BB6_53 Depth=1
	v_sub_nc_u64_e32 v[42:43], v[86:87], v[40:41]
	s_mov_b32 s24, exec_lo
	s_delay_alu instid0(VALU_DEP_1) | instskip(NEXT) | instid1(VALU_DEP_1)
	v_ashrrev_i32_e32 v34, 31, v43
	v_lshrrev_b32_e32 v34, 23, v34
	s_delay_alu instid0(VALU_DEP_1) | instskip(NEXT) | instid1(VALU_DEP_1)
	v_add_nc_u64_e32 v[114:115], v[42:43], v[34:35]
	v_ashrrev_i64 v[44:45], 9, v[114:115]
	v_and_b32_e32 v114, 0xfffffe00, v114
	s_delay_alu instid0(VALU_DEP_1) | instskip(SKIP_1) | instid1(VALU_DEP_2)
	v_sub_nc_u64_e32 v[116:117], v[42:43], v[114:115]
	v_add_nc_u64_e32 v[114:115], v[114:115], v[40:41]
	v_cmpx_lt_i64_e32 15, v[116:117]
; %bb.66:                               ;   in Loop: Header=BB6_53 Depth=1
	v_and_b32_e32 v34, 15, v86
	v_add_nc_u64_e32 v[44:45], 1, v[44:45]
	s_delay_alu instid0(VALU_DEP_2) | instskip(NEXT) | instid1(VALU_DEP_1)
	v_sub_nc_u64_e32 v[116:117], v[116:117], v[34:35]
	v_add_nc_u64_e32 v[114:115], v[116:117], v[114:115]
	v_mov_b64_e32 v[116:117], v[34:35]
; %bb.67:                               ;   in Loop: Header=BB6_53 Depth=1
	s_or_b32 exec_lo, exec_lo, s24
	v_lshlrev_b32_e32 v34, 5, v118
	s_mov_b32 s24, exec_lo
	s_delay_alu instid0(VALU_DEP_1) | instskip(NEXT) | instid1(VALU_DEP_1)
	v_sub_nc_u32_e32 v34, v58, v34
	v_ashrrev_i32_e32 v118, 31, v34
	s_delay_alu instid0(VALU_DEP_1) | instskip(NEXT) | instid1(VALU_DEP_1)
	v_lshrrev_b32_e32 v118, 27, v118
	v_add_nc_u32_e32 v118, v34, v118
	s_delay_alu instid0(VALU_DEP_1) | instskip(NEXT) | instid1(VALU_DEP_1)
	v_and_b32_e32 v119, 0xffffffe0, v118
	v_dual_ashrrev_i32 v118, 5, v118 :: v_dual_sub_nc_u32 v34, v34, v119
	s_delay_alu instid0(VALU_DEP_1) | instskip(NEXT) | instid1(VALU_DEP_1)
	v_lshlrev_b32_e32 v119, 4, v34
	v_lshl_add_u32 v46, v118, 9, v119
	v_ashrrev_i32_e32 v119, 31, v118
	s_delay_alu instid0(VALU_DEP_2) | instskip(NEXT) | instid1(VALU_DEP_2)
	v_ashrrev_i32_e32 v47, 31, v46
	v_sub_nc_u64_e32 v[118:119], v[44:45], v[118:119]
	s_delay_alu instid0(VALU_DEP_2) | instskip(NEXT) | instid1(VALU_DEP_1)
	v_sub_nc_u64_e32 v[42:43], v[42:43], v[46:47]
	v_cmpx_lt_i64_e32 15, v[42:43]
	s_cbranch_execz .LBB6_71
; %bb.68:                               ;   in Loop: Header=BB6_53 Depth=1
	v_add_nc_u64_e32 v[44:45], v[64:65], v[112:113]
	s_mov_b32 s25, 0
	s_delay_alu instid0(VALU_DEP_1) | instskip(SKIP_1) | instid1(VALU_DEP_2)
	v_add_nc_u64_e32 v[44:45], v[44:45], v[40:41]
	v_add_nc_u64_e32 v[40:41], v[8:9], v[100:101]
	;; [unrolled: 1-line block ×4, first 2 shown]
.LBB6_69:                               ;   Parent Loop BB6_53 Depth=1
                                        ; =>  This Inner Loop Header: Depth=2
	s_delay_alu instid0(VALU_DEP_2) | instskip(SKIP_1) | instid1(VALU_DEP_3)
	v_add_nc_u64_e32 v[60:61], v[40:41], v[44:45]
	v_sub_nc_u64_e32 v[42:43], v[42:43], v[52:53]
	v_add_nc_u64_e32 v[72:73], v[46:47], v[44:45]
	v_sub_nc_u64_e32 v[118:119], v[118:119], v[36:37]
	v_add_nc_u64_e32 v[44:45], v[44:45], v[52:53]
	global_load_b128 v[60:63], v[60:61], off th:TH_LOAD_NT
	v_cmp_gt_i64_e32 vcc_lo, 16, v[42:43]
	s_or_b32 s25, vcc_lo, s25
	s_wait_loadcnt 0x0
	global_store_b128 v[72:73], v[60:63], off th:TH_STORE_NT
	s_wait_xcnt 0x0
	s_and_not1_b32 exec_lo, exec_lo, s25
	s_cbranch_execnz .LBB6_69
; %bb.70:                               ;   in Loop: Header=BB6_53 Depth=1
	s_or_b32 exec_lo, exec_lo, s25
.LBB6_71:                               ;   in Loop: Header=BB6_53 Depth=1
	s_delay_alu instid0(SALU_CYCLE_1)
	s_or_b32 exec_lo, exec_lo, s24
	s_mov_b32 s24, 0
	s_mov_b32 s25, exec_lo
                                        ; implicit-def: $vgpr60
                                        ; implicit-def: $vgpr42
                                        ; implicit-def: $vgpr44_vgpr45
	v_cmpx_ne_u64_e32 0, v[116:117]
	s_cbranch_execz .LBB6_73
; %bb.72:                               ;   in Loop: Header=BB6_53 Depth=1
	v_cmp_lt_i64_e32 vcc_lo, 0, v[118:119]
	s_mov_b32 s24, exec_lo
	v_cndmask_b32_e32 v119, 0, v36, vcc_lo
	s_delay_alu instid0(VALU_DEP_1) | instskip(NEXT) | instid1(VALU_DEP_1)
	v_sub_nc_u32_e32 v118, v119, v118
	v_lshl_add_u32 v60, v118, 5, v34
	s_delay_alu instid0(VALU_DEP_1) | instskip(NEXT) | instid1(VALU_DEP_1)
	v_ashrrev_i32_e32 v34, 31, v60
	v_lshrrev_b32_e32 v34, 27, v34
	s_delay_alu instid0(VALU_DEP_1) | instskip(NEXT) | instid1(VALU_DEP_1)
	v_add_nc_u32_e32 v34, v60, v34
	v_ashrrev_i32_e32 v42, 5, v34
	s_delay_alu instid0(VALU_DEP_1) | instskip(NEXT) | instid1(VALU_DEP_1)
	v_ashrrev_i32_e32 v43, 31, v42
	v_mov_b64_e32 v[44:45], v[42:43]
.LBB6_73:                               ;   in Loop: Header=BB6_53 Depth=1
	s_or_b32 exec_lo, exec_lo, s25
	s_delay_alu instid0(SALU_CYCLE_1)
	s_and_b32 s24, s24, exec_lo
.LBB6_74:                               ;   in Loop: Header=BB6_53 Depth=1
	s_or_b32 exec_lo, exec_lo, s12
	s_and_saveexec_b32 s12, s24
	s_cbranch_execz .LBB6_83
.LBB6_75:                               ;   in Loop: Header=BB6_53 Depth=1
	v_ashrrev_i32_e32 v34, 31, v117
	s_mov_b32 s24, exec_lo
	s_delay_alu instid0(VALU_DEP_1) | instskip(NEXT) | instid1(VALU_DEP_1)
	v_lshrrev_b32_e32 v34, 22, v34
	v_add_nc_u64_e32 v[118:119], v[116:117], v[34:35]
	v_ashrrev_i32_e32 v34, 31, v60
	s_delay_alu instid0(VALU_DEP_1) | instskip(NEXT) | instid1(VALU_DEP_3)
	v_lshrrev_b32_e32 v34, 27, v34
	v_ashrrev_i64 v[40:41], 10, v[118:119]
	s_delay_alu instid0(VALU_DEP_1) | instskip(NEXT) | instid1(VALU_DEP_1)
	v_sub_nc_u64_e32 v[118:119], v[40:41], v[44:45]
	v_cmpx_lt_i64_e32 0, v[118:119]
	s_cbranch_execz .LBB6_79
; %bb.76:                               ;   in Loop: Header=BB6_53 Depth=1
	v_add_nc_u64_e32 v[44:45], v[64:65], v[112:113]
	v_add_nc_u32_e32 v43, v60, v34
	s_mov_b32 s25, 0
	s_delay_alu instid0(VALU_DEP_1) | instskip(NEXT) | instid1(VALU_DEP_3)
	v_and_b32_e32 v43, 0xffffffe0, v43
	v_add_nc_u64_e32 v[44:45], v[44:45], v[114:115]
	s_delay_alu instid0(VALU_DEP_2) | instskip(NEXT) | instid1(VALU_DEP_2)
	v_sub_nc_u32_e32 v43, v60, v43
	v_add_nc_u64_e32 v[46:47], v[44:45], v[8:9]
	v_add_nc_u64_e32 v[62:63], v[44:45], v[6:7]
	s_delay_alu instid0(VALU_DEP_3) | instskip(NEXT) | instid1(VALU_DEP_1)
	v_lshl_add_u32 v42, v42, 10, v43
	v_ashrrev_i32_e32 v43, 31, v42
	s_delay_alu instid0(VALU_DEP_4) | instskip(NEXT) | instid1(VALU_DEP_4)
	v_add_nc_u64_e32 v[44:45], v[46:47], v[100:101]
	v_add_nc_u64_e32 v[46:47], v[62:63], v[102:103]
.LBB6_77:                               ;   Parent Loop BB6_53 Depth=1
                                        ; =>  This Inner Loop Header: Depth=2
	s_delay_alu instid0(VALU_DEP_2)
	v_add_nc_u64_e32 v[62:63], v[42:43], v[44:45]
	v_sub_nc_u64_e32 v[118:119], v[118:119], v[36:37]
	v_add_nc_u64_e32 v[44:45], v[44:45], v[54:55]
	s_clause 0x1f
	flat_load_u8 v61, v[62:63] th:TH_LOAD_NT
	flat_load_u8 v72, v[62:63] offset:32 th:TH_LOAD_NT
	flat_load_u8 v73, v[62:63] offset:64 th:TH_LOAD_NT
	;; [unrolled: 1-line block ×31, first 2 shown]
	v_cmp_gt_i64_e32 vcc_lo, 1, v[118:119]
	s_wait_xcnt 0x0
	v_add_nc_u64_e32 v[62:63], v[42:43], v[46:47]
	v_add_nc_u64_e32 v[46:47], v[46:47], v[54:55]
	s_wait_loadcnt_dscnt 0x1f1f
	flat_store_b8 v[62:63], v61 th:TH_STORE_NT
	s_wait_loadcnt_dscnt 0x1e1f
	flat_store_b8 v[62:63], v72 offset:32 th:TH_STORE_NT
	s_wait_loadcnt_dscnt 0x1d1f
	flat_store_b8 v[62:63], v73 offset:64 th:TH_STORE_NT
	s_wait_loadcnt_dscnt 0x1c1f
	flat_store_b8 v[62:63], v74 offset:96 th:TH_STORE_NT
	s_wait_loadcnt_dscnt 0x1b1f
	flat_store_b8 v[62:63], v75 offset:128 th:TH_STORE_NT
	s_wait_loadcnt_dscnt 0x1a1f
	flat_store_b8 v[62:63], v76 offset:160 th:TH_STORE_NT
	s_wait_loadcnt_dscnt 0x191f
	flat_store_b8 v[62:63], v77 offset:192 th:TH_STORE_NT
	s_wait_loadcnt_dscnt 0x181f
	flat_store_b8 v[62:63], v78 offset:224 th:TH_STORE_NT
	s_wait_loadcnt_dscnt 0x171f
	flat_store_b8 v[62:63], v79 offset:256 th:TH_STORE_NT
	s_wait_loadcnt_dscnt 0x161f
	flat_store_b8 v[62:63], v88 offset:288 th:TH_STORE_NT
	s_wait_loadcnt_dscnt 0x151f
	flat_store_b8 v[62:63], v89 offset:320 th:TH_STORE_NT
	s_wait_loadcnt_dscnt 0x141f
	flat_store_b8 v[62:63], v90 offset:352 th:TH_STORE_NT
	s_wait_loadcnt_dscnt 0x131f
	flat_store_b8 v[62:63], v91 offset:384 th:TH_STORE_NT
	s_wait_loadcnt_dscnt 0x121f
	flat_store_b8 v[62:63], v92 offset:416 th:TH_STORE_NT
	s_wait_loadcnt_dscnt 0x111f
	flat_store_b8 v[62:63], v93 offset:448 th:TH_STORE_NT
	s_wait_loadcnt_dscnt 0x101f
	flat_store_b8 v[62:63], v94 offset:480 th:TH_STORE_NT
	s_wait_loadcnt_dscnt 0xf1f
	flat_store_b8 v[62:63], v95 offset:512 th:TH_STORE_NT
	s_wait_loadcnt_dscnt 0xe1f
	flat_store_b8 v[62:63], v104 offset:544 th:TH_STORE_NT
	s_wait_loadcnt_dscnt 0xd1f
	flat_store_b8 v[62:63], v105 offset:576 th:TH_STORE_NT
	s_wait_loadcnt_dscnt 0xc1f
	flat_store_b8 v[62:63], v106 offset:608 th:TH_STORE_NT
	s_wait_loadcnt_dscnt 0xb1f
	flat_store_b8 v[62:63], v107 offset:640 th:TH_STORE_NT
	s_wait_loadcnt_dscnt 0xa1f
	flat_store_b8 v[62:63], v108 offset:672 th:TH_STORE_NT
	s_wait_loadcnt_dscnt 0x91f
	flat_store_b8 v[62:63], v109 offset:704 th:TH_STORE_NT
	s_wait_loadcnt_dscnt 0x81f
	flat_store_b8 v[62:63], v110 offset:736 th:TH_STORE_NT
	s_wait_loadcnt_dscnt 0x71f
	flat_store_b8 v[62:63], v111 offset:768 th:TH_STORE_NT
	s_wait_loadcnt_dscnt 0x61f
	flat_store_b8 v[62:63], v120 offset:800 th:TH_STORE_NT
	s_wait_loadcnt_dscnt 0x51f
	flat_store_b8 v[62:63], v121 offset:832 th:TH_STORE_NT
	s_wait_loadcnt_dscnt 0x41f
	flat_store_b8 v[62:63], v122 offset:864 th:TH_STORE_NT
	s_wait_loadcnt_dscnt 0x31f
	flat_store_b8 v[62:63], v123 offset:896 th:TH_STORE_NT
	s_wait_loadcnt_dscnt 0x21f
	flat_store_b8 v[62:63], v124 offset:928 th:TH_STORE_NT
	s_wait_loadcnt_dscnt 0x11f
	flat_store_b8 v[62:63], v125 offset:960 th:TH_STORE_NT
	s_wait_loadcnt_dscnt 0x1f
	flat_store_b8 v[62:63], v126 offset:992 th:TH_STORE_NT
	s_or_b32 s25, vcc_lo, s25
	s_wait_xcnt 0x0
	s_and_not1_b32 exec_lo, exec_lo, s25
	s_cbranch_execnz .LBB6_77
; %bb.78:                               ;   in Loop: Header=BB6_53 Depth=1
	s_or_b32 exec_lo, exec_lo, s25
.LBB6_79:                               ;   in Loop: Header=BB6_53 Depth=1
	s_delay_alu instid0(SALU_CYCLE_1) | instskip(SKIP_1) | instid1(VALU_DEP_1)
	s_or_b32 exec_lo, exec_lo, s24
	v_lshlrev_b64_e32 v[40:41], 10, v[40:41]
	v_cmp_ne_u64_e32 vcc_lo, v[116:117], v[40:41]
	s_and_b32 exec_lo, exec_lo, vcc_lo
	s_cbranch_execz .LBB6_83
; %bb.80:                               ;   in Loop: Header=BB6_53 Depth=1
	v_add_nc_u32_e32 v34, v60, v34
	v_lshlrev_b32_e32 v118, 5, v118
	s_delay_alu instid0(VALU_DEP_2) | instskip(NEXT) | instid1(VALU_DEP_1)
	v_and_b32_e32 v34, 0xffffffe0, v34
	v_sub_nc_u32_e32 v34, v60, v34
	s_delay_alu instid0(VALU_DEP_1) | instskip(NEXT) | instid1(VALU_DEP_1)
	v_sub_nc_u32_e32 v118, v34, v118
	v_ashrrev_i32_e32 v119, 31, v118
	s_delay_alu instid0(VALU_DEP_1) | instskip(NEXT) | instid1(VALU_DEP_1)
	v_add_nc_u64_e32 v[42:43], v[40:41], v[118:119]
	v_sub_nc_u64_e32 v[116:117], v[116:117], v[42:43]
	s_delay_alu instid0(VALU_DEP_1)
	v_cmp_lt_i64_e32 vcc_lo, 0, v[116:117]
	s_and_b32 exec_lo, exec_lo, vcc_lo
	s_cbranch_execz .LBB6_83
; %bb.81:                               ;   in Loop: Header=BB6_53 Depth=1
	v_add_nc_u64_e32 v[112:113], v[64:65], v[112:113]
	v_add_nc_u64_e32 v[8:9], v[8:9], v[100:101]
	;; [unrolled: 1-line block ×3, first 2 shown]
	s_mov_b32 s24, 0
	s_delay_alu instid0(VALU_DEP_3) | instskip(NEXT) | instid1(VALU_DEP_1)
	v_add_nc_u64_e32 v[112:113], v[112:113], v[114:115]
	v_add_nc_u64_e32 v[112:113], v[112:113], v[40:41]
	s_delay_alu instid0(VALU_DEP_1)
	v_add_nc_u64_e32 v[100:101], v[112:113], v[118:119]
.LBB6_82:                               ;   Parent Loop BB6_53 Depth=1
                                        ; =>  This Inner Loop Header: Depth=2
	s_delay_alu instid0(VALU_DEP_1)
	v_add_nc_u64_e32 v[102:103], v[8:9], v[100:101]
	v_sub_nc_u64_e32 v[116:117], v[116:117], v[38:39]
	flat_load_u8 v34, v[102:103] th:TH_LOAD_NT
	v_cmp_gt_i64_e32 vcc_lo, 1, v[116:117]
	s_wait_xcnt 0x0
	v_add_nc_u64_e32 v[102:103], v[6:7], v[100:101]
	v_add_nc_u64_e32 v[100:101], v[100:101], v[38:39]
	s_or_b32 s24, vcc_lo, s24
	s_wait_loadcnt_dscnt 0x0
	flat_store_b8 v[102:103], v34 th:TH_STORE_NT
	s_wait_xcnt 0x0
	s_and_not1_b32 exec_lo, exec_lo, s24
	s_cbranch_execnz .LBB6_82
.LBB6_83:                               ;   in Loop: Header=BB6_53 Depth=1
	s_or_b32 exec_lo, exec_lo, s12
	s_delay_alu instid0(SALU_CYCLE_1)
	s_xor_b32 s24, exec_lo, -1
.LBB6_84:                               ;   in Loop: Header=BB6_53 Depth=1
	s_or_b32 exec_lo, exec_lo, s10
	s_and_saveexec_b32 s12, s24
	s_cbranch_execz .LBB6_613
.LBB6_85:                               ;   in Loop: Header=BB6_53 Depth=1
	s_mov_b32 s24, exec_lo
	v_cmpx_lt_i64_e32 0, v[86:87]
	s_cbranch_execz .LBB6_612
; %bb.86:                               ;   in Loop: Header=BB6_53 Depth=1
	v_mov_b64_e32 v[6:7], 0
	s_cmp_gt_u32 s23, 1
	s_mov_b32 s25, 0
	s_cselect_b32 s26, -1, 0
	s_branch .LBB6_89
.LBB6_87:                               ;   in Loop: Header=BB6_89 Depth=2
	s_or_b32 exec_lo, exec_lo, s28
.LBB6_88:                               ;   in Loop: Header=BB6_89 Depth=2
	s_delay_alu instid0(SALU_CYCLE_1) | instskip(SKIP_1) | instid1(VALU_DEP_1)
	s_or_b32 exec_lo, exec_lo, s27
	v_add_nc_u64_e32 v[6:7], v[6:7], v[32:33]
	v_cmp_ge_i64_e32 vcc_lo, v[6:7], v[86:87]
	s_or_b32 s25, vcc_lo, s25
	s_delay_alu instid0(SALU_CYCLE_1)
	s_and_not1_b32 exec_lo, exec_lo, s25
	s_cbranch_execz .LBB6_611
.LBB6_89:                               ;   Parent Loop BB6_53 Depth=1
                                        ; =>  This Loop Header: Depth=2
                                        ;       Child Loop BB6_93 Depth 3
                                        ;         Child Loop BB6_101 Depth 4
                                        ;         Child Loop BB6_125 Depth 4
	;; [unrolled: 1-line block ×8, first 2 shown]
                                        ;       Child Loop BB6_214 Depth 3
                                        ;         Child Loop BB6_220 Depth 4
                                        ;         Child Loop BB6_244 Depth 4
                                        ;       Child Loop BB6_265 Depth 3
                                        ;         Child Loop BB6_268 Depth 4
                                        ;           Child Loop BB6_276 Depth 5
                                        ;           Child Loop BB6_304 Depth 5
	;; [unrolled: 1-line block ×8, first 2 shown]
                                        ;         Child Loop BB6_393 Depth 4
                                        ;           Child Loop BB6_399 Depth 5
                                        ;           Child Loop BB6_427 Depth 5
                                        ;       Child Loop BB6_447 Depth 3
                                        ;         Child Loop BB6_455 Depth 4
                                        ;         Child Loop BB6_479 Depth 4
	;; [unrolled: 1-line block ×8, first 2 shown]
                                        ;       Child Loop BB6_566 Depth 3
                                        ;         Child Loop BB6_572 Depth 4
                                        ;         Child Loop BB6_596 Depth 4
	s_delay_alu instid0(VALU_DEP_1) | instskip(SKIP_1) | instid1(VALU_DEP_2)
	v_sub_nc_u64_e32 v[8:9], v[86:87], v[6:7]
	v_mov_b32_e32 v102, 0
	v_min_i64 v[8:9], v[32:33], v[8:9]
	s_delay_alu instid0(VALU_DEP_1) | instskip(NEXT) | instid1(VALU_DEP_2)
	v_add_nc_u32_e32 v34, 31, v8
	v_cmp_ne_u64_e32 vcc_lo, 0, v[8:9]
	s_delay_alu instid0(VALU_DEP_2) | instskip(SKIP_1) | instid1(VALU_DEP_1)
	v_dual_mov_b32 v9, 0 :: v_dual_lshrrev_b32 v34, 1, v34
	s_and_b32 s27, s11, vcc_lo
	v_and_b32_e32 v34, 0x3ffffff0, v34
	s_delay_alu instid0(VALU_DEP_1)
	v_max_i32_e32 v100, s21, v34
	s_and_saveexec_b32 s28, s27
	s_cbranch_execz .LBB6_210
; %bb.90:                               ;   in Loop: Header=BB6_89 Depth=2
	v_mov_b32_e32 v102, 0
	s_mov_b32 s41, 1
	s_mov_b32 s40, -1
	s_mov_b32 s29, 0
	s_branch .LBB6_93
.LBB6_91:                               ;   in Loop: Header=BB6_93 Depth=3
	s_wait_xcnt 0x0
	s_or_b32 exec_lo, exec_lo, s42
	v_add_nc_u64_e32 v[84:85], 2, v[84:85]
	global_wb scope:SCOPE_SYS
	s_wait_storecnt 0x0
	s_wait_loadcnt_dscnt 0x0
	flat_store_b64 v[18:19], v[84:85] scope:SCOPE_SYS
.LBB6_92:                               ;   in Loop: Header=BB6_93 Depth=3
	s_wait_xcnt 0x0
	s_or_b32 exec_lo, exec_lo, s10
	v_dual_mov_b32 v9, s41 :: v_dual_add_nc_u32 v102, v100, v102
	s_xor_b32 s10, s40, -1
	s_mov_b32 s40, 0
	s_mov_b32 s41, 2
	s_delay_alu instid0(VALU_DEP_1) | instskip(SKIP_1) | instid1(SALU_CYCLE_1)
	v_cmp_ge_i32_e32 vcc_lo, v102, v8
	s_or_b32 s10, s10, vcc_lo
	s_and_b32 s10, exec_lo, s10
	s_delay_alu instid0(SALU_CYCLE_1) | instskip(NEXT) | instid1(SALU_CYCLE_1)
	s_or_b32 s29, s10, s29
	s_and_not1_b32 exec_lo, exec_lo, s29
	s_cbranch_execz .LBB6_209
.LBB6_93:                               ;   Parent Loop BB6_53 Depth=1
                                        ;     Parent Loop BB6_89 Depth=2
                                        ; =>    This Loop Header: Depth=3
                                        ;         Child Loop BB6_101 Depth 4
                                        ;         Child Loop BB6_125 Depth 4
	;; [unrolled: 1-line block ×8, first 2 shown]
	s_and_saveexec_b32 s10, s0
	s_cbranch_execz .LBB6_95
; %bb.94:                               ;   in Loop: Header=BB6_93 Depth=3
	s_trap 2
	ds_load_b64 v[112:113], v0
	v_ashrrev_i32_e32 v103, 31, v102
	s_wait_dscnt 0x0
	v_add_nc_u64_e32 v[112:113], v[112:113], v[96:97]
	s_delay_alu instid0(VALU_DEP_1) | instskip(NEXT) | instid1(VALU_DEP_1)
	v_add_nc_u64_e32 v[112:113], v[112:113], v[6:7]
	v_add_nc_u64_e32 v[112:113], v[112:113], v[102:103]
	ds_store_b64 v0, v[112:113]
	ds_store_b64 v0, v[48:49]
.LBB6_95:                               ;   in Loop: Header=BB6_93 Depth=3
	s_or_b32 exec_lo, exec_lo, s10
	v_sub_nc_u32_e32 v9, v8, v102
	v_and_b32_e32 v34, 8, v82
	s_mov_b32 s42, exec_lo
	s_delay_alu instid0(VALU_DEP_2) | instskip(NEXT) | instid1(VALU_DEP_2)
	v_min_i32_e32 v100, v100, v9
	v_cmpx_ne_u32_e32 0, v34
	s_cbranch_execz .LBB6_117
; %bb.96:                               ;   in Loop: Header=BB6_93 Depth=3
	s_wait_loadcnt 0x0
	v_add_nc_u64_e32 v[114:115], 8, v[26:27]
	v_add_nc_u64_e32 v[112:113], 2, v[84:85]
	s_mov_b32 s43, exec_lo
	s_delay_alu instid0(VALU_DEP_1)
	v_cmpx_lt_u64_e64 v[114:115], v[112:113]
	s_cbranch_execz .LBB6_108
; %bb.97:                               ;   in Loop: Header=BB6_93 Depth=3
	v_and_b32_e32 v9, 64, v82
	s_mov_b32 s44, 0
	s_mov_b32 s56, 0
                                        ; implicit-def: $sgpr45
                                        ; implicit-def: $sgpr46
                                        ; implicit-def: $sgpr47
	s_delay_alu instid0(VALU_DEP_1)
	v_cmp_eq_u32_e32 vcc_lo, 0, v9
	s_branch .LBB6_101
.LBB6_98:                               ;   in Loop: Header=BB6_101 Depth=4
	s_wait_loadcnt_dscnt 0x0
	v_add_nc_u64_e32 v[114:115], 8, v[26:27]
	s_or_b32 s59, s59, exec_lo
	s_delay_alu instid0(VALU_DEP_1)
	v_cmp_ge_u64_e64 s10, v[114:115], v[112:113]
	s_or_not1_b32 s58, s10, exec_lo
.LBB6_99:                               ;   in Loop: Header=BB6_101 Depth=4
	s_or_b32 exec_lo, exec_lo, s61
	s_delay_alu instid0(SALU_CYCLE_1)
	s_and_not1_b32 s10, s47, exec_lo
	s_and_b32 s47, s59, exec_lo
	s_and_not1_b32 s46, s46, exec_lo
	s_and_b32 s58, s58, exec_lo
	s_or_b32 s47, s10, s47
	s_or_b32 s46, s46, s58
.LBB6_100:                              ;   in Loop: Header=BB6_101 Depth=4
	s_or_b32 exec_lo, exec_lo, s57
	s_delay_alu instid0(SALU_CYCLE_1) | instskip(NEXT) | instid1(SALU_CYCLE_1)
	s_and_b32 s10, exec_lo, s46
	s_or_b32 s44, s10, s44
	s_and_not1_b32 s10, s45, exec_lo
	s_and_b32 s45, s47, exec_lo
	s_delay_alu instid0(SALU_CYCLE_1)
	s_or_b32 s45, s10, s45
	s_and_not1_b32 exec_lo, exec_lo, s44
	s_cbranch_execz .LBB6_105
.LBB6_101:                              ;   Parent Loop BB6_53 Depth=1
                                        ;     Parent Loop BB6_89 Depth=2
                                        ;       Parent Loop BB6_93 Depth=3
                                        ; =>      This Inner Loop Header: Depth=4
	s_sleep 1
	s_wait_loadcnt_dscnt 0x0
	flat_load_b64 v[26:27], v[18:19] scope:SCOPE_SYS
	s_or_b32 s47, s47, exec_lo
	s_or_b32 s46, s46, exec_lo
                                        ; implicit-def: $vgpr9
	s_wait_xcnt 0x0
	s_and_saveexec_b32 s57, vcc_lo
	s_cbranch_execz .LBB6_100
; %bb.102:                              ;   in Loop: Header=BB6_101 Depth=4
	s_cmp_lt_i32 s56, 0x270f
	s_mov_b32 s58, -1
	s_cselect_b32 s60, -1, 0
	s_cmp_gt_i32 s56, 0x270e
	s_cbranch_scc0 .LBB6_104
; %bb.103:                              ;   in Loop: Header=BB6_101 Depth=4
	s_trap 2
	ds_load_b64 v[114:115], v0
	s_and_not1_b32 s56, s60, exec_lo
	s_mov_b32 s59, 0
	s_wait_storecnt 0x0
	s_wait_loadcnt_dscnt 0x0
	flat_load_b32 v9, v[114:115] scope:SCOPE_SYS
	s_wait_loadcnt_dscnt 0x0
	global_inv scope:SCOPE_SYS
	v_cmp_eq_u32_e64 s10, 0, v9
	s_and_b32 s10, s10, exec_lo
	s_delay_alu instid0(SALU_CYCLE_1)
	s_or_b32 s60, s56, s10
	s_mov_b32 s56, 0
	s_and_saveexec_b32 s61, s60
	s_cbranch_execz .LBB6_99
	s_branch .LBB6_98
.LBB6_104:                              ;   in Loop: Header=BB6_101 Depth=4
	s_add_co_i32 s56, s56, 1
	s_mov_b32 s59, -1
                                        ; implicit-def: $vgpr9
	s_and_saveexec_b32 s61, s60
	s_cbranch_execz .LBB6_99
	s_branch .LBB6_98
.LBB6_105:                              ;   in Loop: Header=BB6_93 Depth=3
	s_or_b32 exec_lo, exec_lo, s44
	s_xor_b32 s10, s45, -1
	s_delay_alu instid0(SALU_CYCLE_1) | instskip(NEXT) | instid1(SALU_CYCLE_1)
	s_and_saveexec_b32 s44, s10
	s_xor_b32 s10, exec_lo, s44
	s_cbranch_execz .LBB6_107
; %bb.106:                              ;   in Loop: Header=BB6_93 Depth=3
	v_or_b32_e32 v82, 64, v82
	s_wait_storecnt 0x0
	s_wait_loadcnt_dscnt 0x0
	ds_store_b32 v0, v9
	s_trap 2
.LBB6_107:                              ;   in Loop: Header=BB6_93 Depth=3
	s_or_b32 exec_lo, exec_lo, s10
.LBB6_108:                              ;   in Loop: Header=BB6_93 Depth=3
	s_delay_alu instid0(SALU_CYCLE_1)
	s_or_b32 exec_lo, exec_lo, s43
	v_and_b32_e32 v9, 0x100, v82
	v_and_b32_e32 v34, 7, v84
	s_mov_b32 s10, -1
	s_mov_b32 s43, exec_lo
	;;#ASMSTART
	s_wakeup
	;;#ASMEND
                                        ; implicit-def: $vgpr84_vgpr85
	v_cmpx_ne_u32_e32 0, v9
	s_cbranch_execz .LBB6_112
; %bb.109:                              ;   in Loop: Header=BB6_93 Depth=3
	v_mad_nc_u64_u32 v[114:115], v34, 24, v[4:5]
	v_ashrrev_i32_e32 v101, 31, v100
	s_mov_b32 s44, exec_lo
                                        ; implicit-def: $vgpr84_vgpr85
	s_clause 0x1
	flat_load_b32 v9, v[114:115]
	flat_store_b64 v[114:115], v[100:101] offset:8
	s_wait_loadcnt_dscnt 0x1
	v_cmp_ne_u32_e32 vcc_lo, 1, v9
	s_wait_xcnt 0x0
	v_cmpx_eq_u32_e32 1, v9
	s_cbranch_execz .LBB6_111
; %bb.110:                              ;   in Loop: Header=BB6_93 Depth=3
	flat_load_b32 v84, v[114:115] offset:4 scope:SCOPE_SYS
	s_wait_loadcnt_dscnt 0x0
	v_ashrrev_i32_e32 v85, 31, v84
.LBB6_111:                              ;   in Loop: Header=BB6_93 Depth=3
	s_wait_xcnt 0x0
	s_or_b32 exec_lo, exec_lo, s44
	s_delay_alu instid0(SALU_CYCLE_1)
	s_or_not1_b32 s10, vcc_lo, exec_lo
.LBB6_112:                              ;   in Loop: Header=BB6_93 Depth=3
	s_or_b32 exec_lo, exec_lo, s43
	s_and_saveexec_b32 s43, s10
; %bb.113:                              ;   in Loop: Header=BB6_93 Depth=3
	v_mul_u64_e32 v[84:85], v[34:35], v[20:21]
; %bb.114:                              ;   in Loop: Header=BB6_93 Depth=3
	s_or_b32 exec_lo, exec_lo, s43
	s_delay_alu instid0(VALU_DEP_1)
	v_add_nc_u64_e32 v[84:85], v[22:23], v[84:85]
	v_and_b32_e32 v9, 0x2000, v82
	s_mov_b32 s10, exec_lo
	ds_store_b64 v0, v[84:85] offset:784
	v_cmpx_ne_u32_e32 0, v9
	s_cbranch_execz .LBB6_116
; %bb.115:                              ;   in Loop: Header=BB6_93 Depth=3
	ds_load_b64 v[84:85], v0 offset:872
	s_wait_dscnt 0x0
	v_add_nc_u64_e32 v[84:85], 1, v[84:85]
	ds_store_b64 v0, v[84:85] offset:872
.LBB6_116:                              ;   in Loop: Header=BB6_93 Depth=3
	s_or_b32 exec_lo, exec_lo, s10
	v_mov_b64_e32 v[84:85], v[112:113]
.LBB6_117:                              ;   in Loop: Header=BB6_93 Depth=3
	s_or_b32 exec_lo, exec_lo, s42
	s_and_saveexec_b32 s10, s1
	s_cbranch_execz .LBB6_136
; %bb.118:                              ;   in Loop: Header=BB6_93 Depth=3
	s_and_saveexec_b32 s42, s2
	s_delay_alu instid0(SALU_CYCLE_1)
	s_xor_b32 s42, exec_lo, s42
	s_cbranch_execz .LBB6_133
; %bb.119:                              ;   in Loop: Header=BB6_93 Depth=3
	s_and_saveexec_b32 s43, s5
	s_cbranch_execz .LBB6_132
; %bb.120:                              ;   in Loop: Header=BB6_93 Depth=3
	s_mov_b32 s45, exec_lo
	s_mov_b32 s44, exec_lo
	v_mbcnt_lo_u32_b32 v9, s45, 0
	global_wb scope:SCOPE_DEV
	s_wait_storecnt 0x0
	s_wait_loadcnt_dscnt 0x0
	global_inv scope:SCOPE_DEV
	v_cmpx_eq_u32_e32 0, v9
	s_cbranch_execz .LBB6_122
; %bb.121:                              ;   in Loop: Header=BB6_93 Depth=3
	s_bcnt1_i32_b32 s45, s45
	s_delay_alu instid0(SALU_CYCLE_1)
	v_mov_b32_e32 v34, s45
	s_wait_loadcnt 0x0
	ds_add_u64 v0, v[34:35]
	s_trap 2
.LBB6_122:                              ;   in Loop: Header=BB6_93 Depth=3
	s_or_b32 exec_lo, exec_lo, s44
	s_trap 2
	ds_load_b64 v[112:113], v0
	s_wait_dscnt 0x0
	v_add_nc_u64_e32 v[10:11], v[10:11], v[36:37]
	s_mov_b32 s44, exec_lo
	s_delay_alu instid0(VALU_DEP_1)
	v_cmpx_lt_u64_e64 v[112:113], v[10:11]
	s_cbranch_execz .LBB6_131
; %bb.123:                              ;   in Loop: Header=BB6_93 Depth=3
	s_mov_b32 s45, 0
	s_mov_b32 s56, 0
                                        ; implicit-def: $sgpr46
                                        ; implicit-def: $sgpr47
	s_branch .LBB6_125
.LBB6_124:                              ;   in Loop: Header=BB6_125 Depth=4
	s_or_b32 exec_lo, exec_lo, s58
	s_delay_alu instid0(SALU_CYCLE_1) | instskip(NEXT) | instid1(SALU_CYCLE_1)
	s_and_b32 s57, exec_lo, s59
	s_or_b32 s45, s57, s45
	s_and_not1_b32 s46, s46, exec_lo
	s_and_b32 s57, s47, exec_lo
	s_delay_alu instid0(SALU_CYCLE_1)
	s_or_b32 s46, s46, s57
	s_and_not1_b32 exec_lo, exec_lo, s45
	s_cbranch_execz .LBB6_129
.LBB6_125:                              ;   Parent Loop BB6_53 Depth=1
                                        ;     Parent Loop BB6_89 Depth=2
                                        ;       Parent Loop BB6_93 Depth=3
                                        ; =>      This Inner Loop Header: Depth=4
	s_add_co_i32 s56, s56, 1
	s_delay_alu instid0(SALU_CYCLE_1) | instskip(SKIP_1) | instid1(SALU_CYCLE_1)
	s_cmp_lg_u32 s56, 0x2710
	s_cselect_b32 s57, -1, 0
	s_and_b32 vcc_lo, exec_lo, s57
	s_cbranch_vccz .LBB6_127
; %bb.126:                              ;   in Loop: Header=BB6_125 Depth=4
	s_mov_b32 s59, -1
	s_or_b32 s47, s47, exec_lo
	s_and_saveexec_b32 s58, s57
	s_cbranch_execz .LBB6_124
	s_branch .LBB6_128
.LBB6_127:                              ;   in Loop: Header=BB6_125 Depth=4
	s_trap 2
	ds_load_b64 v[112:113], v0
	s_and_not1_b32 s57, s57, exec_lo
	s_mov_b32 s56, 0
	s_wait_loadcnt_dscnt 0x0
	flat_load_b32 v9, v[112:113] scope:SCOPE_SYS
	s_wait_loadcnt_dscnt 0x0
	global_inv scope:SCOPE_SYS
	v_cmp_eq_u32_e32 vcc_lo, 0, v9
	s_and_b32 s58, vcc_lo, exec_lo
	s_delay_alu instid0(SALU_CYCLE_1)
	s_or_b32 s57, s57, s58
	s_mov_b32 s59, -1
	s_or_b32 s47, s47, exec_lo
	s_and_saveexec_b32 s58, s57
	s_cbranch_execz .LBB6_124
.LBB6_128:                              ;   in Loop: Header=BB6_125 Depth=4
	s_sleep 1
	s_trap 2
	ds_load_b64 v[112:113], v0
	s_wait_dscnt 0x0
	s_and_not1_b32 s47, s47, exec_lo
	v_cmp_ge_u64_e32 vcc_lo, v[112:113], v[10:11]
	s_or_not1_b32 s59, vcc_lo, exec_lo
	s_branch .LBB6_124
.LBB6_129:                              ;   in Loop: Header=BB6_93 Depth=3
	s_or_b32 exec_lo, exec_lo, s45
	s_and_saveexec_b32 s45, s46
	s_delay_alu instid0(SALU_CYCLE_1)
	s_xor_b32 s45, exec_lo, s45
	s_cbranch_execz .LBB6_131
; %bb.130:                              ;   in Loop: Header=BB6_93 Depth=3
	ds_store_b32 v0, v57
	s_trap 2
.LBB6_131:                              ;   in Loop: Header=BB6_93 Depth=3
	s_or_b32 exec_lo, exec_lo, s44
	;;#ASMSTART
	s_wakeup
	;;#ASMEND
.LBB6_132:                              ;   in Loop: Header=BB6_93 Depth=3
	s_or_b32 exec_lo, exec_lo, s43
.LBB6_133:                              ;   in Loop: Header=BB6_93 Depth=3
	s_and_not1_saveexec_b32 s42, s42
	s_cbranch_execz .LBB6_135
; %bb.134:                              ;   in Loop: Header=BB6_93 Depth=3
	global_wb scope:SCOPE_DEV
	s_wait_storecnt 0x0
	s_wait_loadcnt_dscnt 0x0
	global_inv scope:SCOPE_DEV
	s_barrier_signal -1
	s_barrier_wait -1
.LBB6_135:                              ;   in Loop: Header=BB6_93 Depth=3
	s_or_b32 exec_lo, exec_lo, s42
.LBB6_136:                              ;   in Loop: Header=BB6_93 Depth=3
	s_delay_alu instid0(SALU_CYCLE_1) | instskip(SKIP_3) | instid1(VALU_DEP_1)
	s_or_b32 exec_lo, exec_lo, s10
	s_trap 2
	ds_load_b32 v9, v0
	v_and_b32_e32 v34, 0x4000, v82
	v_cmp_ne_u32_e32 vcc_lo, 0, v34
	s_and_b32 s42, s22, vcc_lo
	s_delay_alu instid0(SALU_CYCLE_1)
	s_and_saveexec_b32 s10, s42
	s_cbranch_execz .LBB6_155
; %bb.137:                              ;   in Loop: Header=BB6_93 Depth=3
	s_and_saveexec_b32 s42, s2
	s_delay_alu instid0(SALU_CYCLE_1)
	s_xor_b32 s42, exec_lo, s42
	s_cbranch_execz .LBB6_152
; %bb.138:                              ;   in Loop: Header=BB6_93 Depth=3
	s_and_saveexec_b32 s43, s5
	s_cbranch_execz .LBB6_151
; %bb.139:                              ;   in Loop: Header=BB6_93 Depth=3
	s_mov_b32 s45, exec_lo
	s_mov_b32 s44, exec_lo
	v_mbcnt_lo_u32_b32 v34, s45, 0
	global_wb scope:SCOPE_DEV
	s_wait_storecnt 0x0
	s_wait_loadcnt_dscnt 0x0
	global_inv scope:SCOPE_DEV
	v_cmpx_eq_u32_e32 0, v34
	s_cbranch_execz .LBB6_141
; %bb.140:                              ;   in Loop: Header=BB6_93 Depth=3
	s_bcnt1_i32_b32 s45, s45
	s_delay_alu instid0(SALU_CYCLE_1)
	v_mov_b32_e32 v34, s45
	s_wait_loadcnt 0x0
	ds_add_u64 v0, v[34:35]
	s_trap 2
.LBB6_141:                              ;   in Loop: Header=BB6_93 Depth=3
	s_or_b32 exec_lo, exec_lo, s44
	s_trap 2
	ds_load_b64 v[112:113], v0
	s_wait_dscnt 0x0
	v_add_nc_u64_e32 v[10:11], v[10:11], v[36:37]
	s_mov_b32 s44, exec_lo
	s_delay_alu instid0(VALU_DEP_1)
	v_cmpx_lt_u64_e64 v[112:113], v[10:11]
	s_cbranch_execz .LBB6_150
; %bb.142:                              ;   in Loop: Header=BB6_93 Depth=3
	s_mov_b32 s45, 0
	s_mov_b32 s56, 0
                                        ; implicit-def: $sgpr46
                                        ; implicit-def: $sgpr47
	s_branch .LBB6_144
.LBB6_143:                              ;   in Loop: Header=BB6_144 Depth=4
	s_or_b32 exec_lo, exec_lo, s58
	s_delay_alu instid0(SALU_CYCLE_1) | instskip(NEXT) | instid1(SALU_CYCLE_1)
	s_and_b32 s57, exec_lo, s59
	s_or_b32 s45, s57, s45
	s_and_not1_b32 s46, s46, exec_lo
	s_and_b32 s57, s47, exec_lo
	s_delay_alu instid0(SALU_CYCLE_1)
	s_or_b32 s46, s46, s57
	s_and_not1_b32 exec_lo, exec_lo, s45
	s_cbranch_execz .LBB6_148
.LBB6_144:                              ;   Parent Loop BB6_53 Depth=1
                                        ;     Parent Loop BB6_89 Depth=2
                                        ;       Parent Loop BB6_93 Depth=3
                                        ; =>      This Inner Loop Header: Depth=4
	s_add_co_i32 s56, s56, 1
	s_delay_alu instid0(SALU_CYCLE_1) | instskip(SKIP_1) | instid1(SALU_CYCLE_1)
	s_cmp_lg_u32 s56, 0x2710
	s_cselect_b32 s57, -1, 0
	s_and_b32 vcc_lo, exec_lo, s57
	s_cbranch_vccz .LBB6_146
; %bb.145:                              ;   in Loop: Header=BB6_144 Depth=4
	s_mov_b32 s59, -1
	s_or_b32 s47, s47, exec_lo
	s_and_saveexec_b32 s58, s57
	s_cbranch_execz .LBB6_143
	s_branch .LBB6_147
.LBB6_146:                              ;   in Loop: Header=BB6_144 Depth=4
	s_trap 2
	ds_load_b64 v[112:113], v0
	s_and_not1_b32 s57, s57, exec_lo
	s_mov_b32 s56, 0
	s_wait_loadcnt_dscnt 0x0
	flat_load_b32 v34, v[112:113] scope:SCOPE_SYS
	s_wait_loadcnt_dscnt 0x0
	global_inv scope:SCOPE_SYS
	v_cmp_eq_u32_e32 vcc_lo, 0, v34
	s_and_b32 s58, vcc_lo, exec_lo
	s_delay_alu instid0(SALU_CYCLE_1)
	s_or_b32 s57, s57, s58
	s_mov_b32 s59, -1
	s_or_b32 s47, s47, exec_lo
	s_and_saveexec_b32 s58, s57
	s_cbranch_execz .LBB6_143
.LBB6_147:                              ;   in Loop: Header=BB6_144 Depth=4
	s_sleep 1
	s_trap 2
	ds_load_b64 v[112:113], v0
	s_wait_dscnt 0x0
	s_and_not1_b32 s47, s47, exec_lo
	v_cmp_ge_u64_e32 vcc_lo, v[112:113], v[10:11]
	s_or_not1_b32 s59, vcc_lo, exec_lo
	s_branch .LBB6_143
.LBB6_148:                              ;   in Loop: Header=BB6_93 Depth=3
	s_or_b32 exec_lo, exec_lo, s45
	s_and_saveexec_b32 s45, s46
	s_delay_alu instid0(SALU_CYCLE_1)
	s_xor_b32 s45, exec_lo, s45
	s_cbranch_execz .LBB6_150
; %bb.149:                              ;   in Loop: Header=BB6_93 Depth=3
	ds_store_b32 v0, v57
	s_trap 2
.LBB6_150:                              ;   in Loop: Header=BB6_93 Depth=3
	s_or_b32 exec_lo, exec_lo, s44
	;;#ASMSTART
	s_wakeup
	;;#ASMEND
.LBB6_151:                              ;   in Loop: Header=BB6_93 Depth=3
	s_or_b32 exec_lo, exec_lo, s43
.LBB6_152:                              ;   in Loop: Header=BB6_93 Depth=3
	s_and_not1_saveexec_b32 s42, s42
	s_cbranch_execz .LBB6_154
; %bb.153:                              ;   in Loop: Header=BB6_93 Depth=3
	global_wb scope:SCOPE_DEV
	s_wait_storecnt 0x0
	s_wait_loadcnt_dscnt 0x0
	global_inv scope:SCOPE_DEV
	s_barrier_signal -1
	s_barrier_wait -1
.LBB6_154:                              ;   in Loop: Header=BB6_93 Depth=3
	s_or_b32 exec_lo, exec_lo, s42
.LBB6_155:                              ;   in Loop: Header=BB6_93 Depth=3
	s_delay_alu instid0(SALU_CYCLE_1)
	s_or_b32 exec_lo, exec_lo, s10
	s_trap 2
	ds_load_b64 v[112:113], v0
	s_wait_dscnt 0x0
	v_cmp_eq_u64_e32 vcc_lo, 0, v[112:113]
	s_cbranch_vccnz .LBB6_163
; %bb.156:                              ;   in Loop: Header=BB6_93 Depth=3
	s_trap 2
	ds_load_b64 v[114:115], v0
	s_wait_dscnt 0x0
	v_cmp_eq_u64_e32 vcc_lo, 0, v[114:115]
	s_cbranch_vccnz .LBB6_163
; %bb.157:                              ;   in Loop: Header=BB6_93 Depth=3
	s_mov_b32 s10, -1
	s_and_saveexec_b32 s42, s6
	s_cbranch_execz .LBB6_159
; %bb.158:                              ;   in Loop: Header=BB6_93 Depth=3
	ds_load_b32 v34, v0 offset:720
	s_wait_dscnt 0x0
	v_and_b32_e32 v34, 15, v34
	s_delay_alu instid0(VALU_DEP_1)
	v_cmp_eq_u32_e32 vcc_lo, 0, v34
	s_or_not1_b32 s10, vcc_lo, exec_lo
.LBB6_159:                              ;   in Loop: Header=BB6_93 Depth=3
	s_or_b32 exec_lo, exec_lo, s42
	s_and_saveexec_b32 s42, s7
	s_cbranch_execz .LBB6_161
; %bb.160:                              ;   in Loop: Header=BB6_93 Depth=3
	ds_load_b32 v34, v0 offset:784
	s_wait_dscnt 0x0
	v_and_b32_e32 v34, 15, v34
	s_delay_alu instid0(VALU_DEP_1) | instskip(SKIP_3) | instid1(SALU_CYCLE_1)
	v_cmp_eq_u32_e32 vcc_lo, 0, v34
	s_and_b32 s43, s10, vcc_lo
	s_and_not1_b32 s10, s10, exec_lo
	s_and_b32 s43, s43, exec_lo
	s_or_b32 s10, s10, s43
.LBB6_161:                              ;   in Loop: Header=BB6_93 Depth=3
	s_or_b32 exec_lo, exec_lo, s42
	v_cmp_eq_u32_e32 vcc_lo, 0, v9
	s_xor_b32 s10, s10, -1
	v_mov_b32_e32 v116, v68
	v_cndmask_b32_e64 v34, 0, 1, s10
	s_mov_b32 s43, -1
	v_dual_cndmask_b32 v9, 0, v100, vcc_lo :: v_dual_mov_b32 v103, v0
	s_delay_alu instid0(VALU_DEP_2) | instskip(NEXT) | instid1(VALU_DEP_2)
	v_cmp_ne_u32_e32 vcc_lo, 0, v34
	v_dual_mov_b32 v34, 0 :: v_dual_mov_b32 v101, v9
	s_cbranch_vccz .LBB6_164
; %bb.162:                              ;   in Loop: Header=BB6_93 Depth=3
	s_and_saveexec_b32 s10, s43
	s_cbranch_execnz .LBB6_177
	s_branch .LBB6_185
.LBB6_163:                              ;   in Loop: Header=BB6_93 Depth=3
	s_mov_b32 s10, 0
	s_and_saveexec_b32 s42, s1
	s_cbranch_execnz .LBB6_186
	s_branch .LBB6_204
.LBB6_164:                              ;   in Loop: Header=BB6_93 Depth=3
	v_ashrrev_i32_e32 v34, 31, v9
	s_mov_b32 s10, exec_lo
	s_delay_alu instid0(VALU_DEP_1) | instskip(NEXT) | instid1(VALU_DEP_1)
	v_lshrrev_b32_e32 v34, 20, v34
	v_add_nc_u32_e32 v34, v9, v34
	s_delay_alu instid0(VALU_DEP_1) | instskip(NEXT) | instid1(VALU_DEP_1)
	v_ashrrev_i32_e32 v34, 12, v34
	v_sub_nc_u32_e32 v40, v34, v68
	s_delay_alu instid0(VALU_DEP_1)
	v_cmpx_lt_i32_e32 0, v40
	s_cbranch_execz .LBB6_168
; %bb.165:                              ;   in Loop: Header=BB6_93 Depth=3
	v_mov_b64_e32 v[116:117], v[114:115]
	v_mov_b64_e32 v[118:119], v[112:113]
	s_mov_b32 s42, 0
.LBB6_166:                              ;   Parent Loop BB6_53 Depth=1
                                        ;     Parent Loop BB6_89 Depth=2
                                        ;       Parent Loop BB6_93 Depth=3
                                        ; =>      This Inner Loop Header: Depth=4
	s_delay_alu instid0(VALU_DEP_1)
	v_add_nc_u64_e32 v[46:47], v[70:71], v[118:119]
	v_sub_nc_u32_e32 v40, v40, v36
	v_add_nc_u64_e32 v[118:119], v[118:119], v[50:51]
	s_clause 0x7
	global_load_b128 v[42:45], v[46:47], off th:TH_LOAD_NT
	global_load_b128 v[60:63], v[46:47], off offset:512 th:TH_LOAD_NT
	global_load_b128 v[72:75], v[46:47], off offset:1024 th:TH_LOAD_NT
	;; [unrolled: 1-line block ×7, first 2 shown]
	s_wait_xcnt 0x0
	v_add_nc_u64_e32 v[46:47], v[70:71], v[116:117]
	v_add_nc_u64_e32 v[116:117], v[116:117], v[50:51]
	v_cmp_gt_i32_e32 vcc_lo, 1, v40
	s_wait_loadcnt 0x7
	global_store_b128 v[46:47], v[42:45], off th:TH_STORE_NT
	s_wait_loadcnt 0x6
	global_store_b128 v[46:47], v[60:63], off offset:512 th:TH_STORE_NT
	s_wait_loadcnt 0x5
	global_store_b128 v[46:47], v[72:75], off offset:1024 th:TH_STORE_NT
	;; [unrolled: 2-line block ×7, first 2 shown]
	s_or_b32 s42, vcc_lo, s42
	s_wait_xcnt 0x0
	s_and_not1_b32 exec_lo, exec_lo, s42
	s_cbranch_execnz .LBB6_166
; %bb.167:                              ;   in Loop: Header=BB6_93 Depth=3
	s_or_b32 exec_lo, exec_lo, s42
.LBB6_168:                              ;   in Loop: Header=BB6_93 Depth=3
	s_delay_alu instid0(SALU_CYCLE_1) | instskip(SKIP_3) | instid1(VALU_DEP_1)
	s_or_b32 exec_lo, exec_lo, s10
	v_dual_lshlrev_b32 v118, 12, v34 :: v_dual_mov_b32 v34, 0
	s_mov_b32 s43, 0
	s_mov_b32 s42, exec_lo
                                        ; implicit-def: $vgpr101
                                        ; implicit-def: $vgpr103
                                        ; implicit-def: $vgpr116
	v_cmpx_ne_u32_e64 v9, v118
	s_cbranch_execz .LBB6_176
; %bb.169:                              ;   in Loop: Header=BB6_93 Depth=3
	v_dual_lshlrev_b32 v34, 5, v40 :: v_dual_sub_nc_u32 v103, v9, v118
	s_mov_b32 s43, exec_lo
	s_delay_alu instid0(VALU_DEP_1) | instskip(NEXT) | instid1(VALU_DEP_1)
	v_dual_sub_nc_u32 v34, v58, v34 :: v_dual_ashrrev_i32 v116, 31, v103
	v_dual_ashrrev_i32 v101, 31, v34 :: v_dual_lshrrev_b32 v116, 23, v116
	s_delay_alu instid0(VALU_DEP_1) | instskip(NEXT) | instid1(VALU_DEP_1)
	v_lshrrev_b32_e32 v101, 27, v101
	v_add_nc_u32_e32 v101, v34, v101
	s_delay_alu instid0(VALU_DEP_1) | instskip(NEXT) | instid1(VALU_DEP_1)
	v_and_b32_e32 v117, 0xffffffe0, v101
	v_dual_add_nc_u32 v116, v103, v116 :: v_dual_sub_nc_u32 v40, v34, v117
	s_delay_alu instid0(VALU_DEP_1) | instskip(SKIP_1) | instid1(VALU_DEP_2)
	v_and_b32_e32 v119, 0xfffffe00, v116
	v_dual_ashrrev_i32 v117, 5, v101 :: v_dual_ashrrev_i32 v116, 9, v116
	v_dual_lshlrev_b32 v34, 4, v40 :: v_dual_sub_nc_u32 v41, v103, v119
	s_delay_alu instid0(VALU_DEP_1) | instskip(NEXT) | instid1(VALU_DEP_2)
	v_lshl_add_u32 v101, v117, 9, v34
	v_cmp_lt_i32_e32 vcc_lo, 15, v41
	s_delay_alu instid0(VALU_DEP_2) | instskip(SKIP_1) | instid1(VALU_DEP_1)
	v_sub_nc_u32_e32 v34, v103, v101
	v_add_co_ci_u32_e64 v116, null, 0, v116, vcc_lo
	v_sub_nc_u32_e32 v42, v116, v117
	s_delay_alu instid0(VALU_DEP_3)
	v_cmpx_lt_i32_e32 15, v34
	s_cbranch_execz .LBB6_173
; %bb.170:                              ;   in Loop: Header=BB6_93 Depth=3
	v_add_nc_u32_e32 v116, v101, v118
	s_mov_b32 s44, 0
	s_delay_alu instid0(VALU_DEP_1)
	v_ashrrev_i32_e32 v117, 31, v116
.LBB6_171:                              ;   Parent Loop BB6_53 Depth=1
                                        ;     Parent Loop BB6_89 Depth=2
                                        ;       Parent Loop BB6_93 Depth=3
                                        ; =>      This Inner Loop Header: Depth=4
	s_delay_alu instid0(VALU_DEP_1) | instskip(SKIP_4) | instid1(VALU_DEP_4)
	v_add_nc_u64_e32 v[44:45], v[112:113], v[116:117]
	v_sub_nc_u32_e32 v34, v34, v52
	v_add_nc_u64_e32 v[60:61], v[114:115], v[116:117]
	v_add_nc_u64_e32 v[116:117], v[116:117], v[52:53]
	v_sub_nc_u32_e32 v42, v42, v36
	v_cmp_gt_i32_e64 s10, 16, v34
	global_load_b128 v[44:47], v[44:45], off th:TH_LOAD_NT
	s_or_b32 s44, s10, s44
	s_wait_loadcnt 0x0
	global_store_b128 v[60:61], v[44:47], off th:TH_STORE_NT
	s_wait_xcnt 0x0
	s_and_not1_b32 exec_lo, exec_lo, s44
	s_cbranch_execnz .LBB6_171
; %bb.172:                              ;   in Loop: Header=BB6_93 Depth=3
	s_or_b32 exec_lo, exec_lo, s44
.LBB6_173:                              ;   in Loop: Header=BB6_93 Depth=3
	s_delay_alu instid0(SALU_CYCLE_1) | instskip(SKIP_3) | instid1(VALU_DEP_1)
	s_or_b32 exec_lo, exec_lo, s43
	v_dual_mov_b32 v34, 0 :: v_dual_bitop2_b32 v117, 15, v9 bitop3:0x40
	s_mov_b32 s43, 0
	s_mov_b32 s44, exec_lo
                                        ; implicit-def: $vgpr103
                                        ; implicit-def: $vgpr116
	v_cndmask_b32_e32 v101, v41, v117, vcc_lo
	s_delay_alu instid0(VALU_DEP_1)
	v_cmpx_ne_u32_e32 0, v101
	s_cbranch_execz .LBB6_175
; %bb.174:                              ;   in Loop: Header=BB6_93 Depth=3
	v_cmp_lt_i32_e64 s10, 0, v42
	s_mov_b32 s43, exec_lo
	v_dual_sub_nc_u32 v116, v41, v117 :: v_dual_cndmask_b32 v34, 0, v36, s10
	s_delay_alu instid0(VALU_DEP_1) | instskip(NEXT) | instid1(VALU_DEP_1)
	v_dual_cndmask_b32 v116, 0, v116, vcc_lo :: v_dual_sub_nc_u32 v34, v34, v42
	v_lshl_add_u32 v103, v34, 5, v40
	s_delay_alu instid0(VALU_DEP_1) | instskip(NEXT) | instid1(VALU_DEP_1)
	v_ashrrev_i32_e32 v34, 31, v103
	v_lshrrev_b32_e32 v34, 27, v34
	s_delay_alu instid0(VALU_DEP_1) | instskip(SKIP_1) | instid1(VALU_DEP_2)
	v_add_nc_u32_e32 v117, v103, v34
	v_add3_u32 v34, v119, v118, v116
	v_ashrrev_i32_e32 v116, 5, v117
.LBB6_175:                              ;   in Loop: Header=BB6_93 Depth=3
	s_or_b32 exec_lo, exec_lo, s44
	s_delay_alu instid0(SALU_CYCLE_1)
	s_and_b32 s43, s43, exec_lo
.LBB6_176:                              ;   in Loop: Header=BB6_93 Depth=3
	s_or_b32 exec_lo, exec_lo, s42
	s_and_saveexec_b32 s10, s43
	s_cbranch_execz .LBB6_185
.LBB6_177:                              ;   in Loop: Header=BB6_93 Depth=3
	v_ashrrev_i32_e32 v117, 31, v101
	s_mov_b32 s42, exec_lo
	s_delay_alu instid0(VALU_DEP_1) | instskip(NEXT) | instid1(VALU_DEP_1)
	v_lshrrev_b32_e32 v117, 22, v117
	v_add_nc_u32_e32 v117, v101, v117
	s_delay_alu instid0(VALU_DEP_1) | instskip(NEXT) | instid1(VALU_DEP_1)
	v_dual_ashrrev_i32 v40, 10, v117 :: v_dual_ashrrev_i32 v117, 31, v103
	v_dual_sub_nc_u32 v118, v40, v116 :: v_dual_lshrrev_b32 v119, 27, v117
	s_delay_alu instid0(VALU_DEP_1)
	v_cmpx_lt_i32_e32 0, v118
	s_cbranch_execz .LBB6_181
; %bb.178:                              ;   in Loop: Header=BB6_93 Depth=3
	s_delay_alu instid0(VALU_DEP_2) | instskip(SKIP_1) | instid1(VALU_DEP_1)
	v_dual_add_nc_u32 v117, v103, v119 :: v_dual_lshlrev_b32 v116, 10, v116
	s_mov_b32 s43, 0
	v_and_b32_e32 v117, 0xffffffe0, v117
	s_delay_alu instid0(VALU_DEP_1) | instskip(NEXT) | instid1(VALU_DEP_1)
	v_sub_nc_u32_e32 v117, v103, v117
	v_add3_u32 v116, v34, v117, v116
	s_delay_alu instid0(VALU_DEP_1)
	v_ashrrev_i32_e32 v117, 31, v116
.LBB6_179:                              ;   Parent Loop BB6_53 Depth=1
                                        ;     Parent Loop BB6_89 Depth=2
                                        ;       Parent Loop BB6_93 Depth=3
                                        ; =>      This Inner Loop Header: Depth=4
	s_delay_alu instid0(VALU_DEP_1)
	v_add_nc_u64_e32 v[42:43], v[116:117], v[112:113]
	v_sub_nc_u32_e32 v118, v118, v36
	v_add_nc_u64_e32 v[112:113], v[112:113], v[54:55]
	s_clause 0x1f
	flat_load_u8 v41, v[42:43] th:TH_LOAD_NT
	flat_load_u8 v44, v[42:43] offset:32 th:TH_LOAD_NT
	flat_load_u8 v45, v[42:43] offset:64 th:TH_LOAD_NT
	;; [unrolled: 1-line block ×31, first 2 shown]
	s_wait_xcnt 0x0
	v_add_nc_u64_e32 v[42:43], v[116:117], v[114:115]
	v_add_nc_u64_e32 v[114:115], v[114:115], v[54:55]
	v_cmp_gt_i32_e32 vcc_lo, 1, v118
	s_wait_loadcnt_dscnt 0x1f1f
	flat_store_b8 v[42:43], v41 th:TH_STORE_NT
	s_wait_loadcnt_dscnt 0x1e1f
	flat_store_b8 v[42:43], v44 offset:32 th:TH_STORE_NT
	s_wait_loadcnt_dscnt 0x1d1f
	flat_store_b8 v[42:43], v45 offset:64 th:TH_STORE_NT
	;; [unrolled: 2-line block ×31, first 2 shown]
	s_or_b32 s43, vcc_lo, s43
	s_wait_xcnt 0x0
	s_and_not1_b32 exec_lo, exec_lo, s43
	s_cbranch_execnz .LBB6_179
; %bb.180:                              ;   in Loop: Header=BB6_93 Depth=3
	s_or_b32 exec_lo, exec_lo, s43
.LBB6_181:                              ;   in Loop: Header=BB6_93 Depth=3
	s_delay_alu instid0(SALU_CYCLE_1) | instskip(SKIP_1) | instid1(VALU_DEP_1)
	s_or_b32 exec_lo, exec_lo, s42
	v_lshlrev_b32_e32 v112, 10, v40
	v_cmp_ne_u32_e32 vcc_lo, v101, v112
	s_and_b32 exec_lo, exec_lo, vcc_lo
	s_cbranch_execz .LBB6_185
; %bb.182:                              ;   in Loop: Header=BB6_93 Depth=3
	v_add_nc_u32_e32 v113, v103, v119
	s_delay_alu instid0(VALU_DEP_1) | instskip(NEXT) | instid1(VALU_DEP_1)
	v_and_b32_e32 v113, 0xffffffe0, v113
	v_dual_sub_nc_u32 v103, v103, v113 :: v_dual_lshlrev_b32 v113, 5, v118
	s_delay_alu instid0(VALU_DEP_1) | instskip(NEXT) | instid1(VALU_DEP_1)
	v_sub_nc_u32_e32 v103, v103, v113
	v_add_nc_u32_e32 v103, v112, v103
	s_delay_alu instid0(VALU_DEP_1) | instskip(NEXT) | instid1(VALU_DEP_1)
	v_sub_nc_u32_e32 v101, v101, v103
	v_cmp_lt_i32_e32 vcc_lo, 0, v101
	s_and_b32 exec_lo, exec_lo, vcc_lo
	s_cbranch_execz .LBB6_185
; %bb.183:                              ;   in Loop: Header=BB6_93 Depth=3
	s_trap 2
	ds_load_b64 v[112:113], v0
	v_add_nc_u32_e32 v114, v103, v34
	s_mov_b32 s42, 0
	s_delay_alu instid0(VALU_DEP_1)
	v_ashrrev_i32_e32 v115, 31, v114
.LBB6_184:                              ;   Parent Loop BB6_53 Depth=1
                                        ;     Parent Loop BB6_89 Depth=2
                                        ;       Parent Loop BB6_93 Depth=3
                                        ; =>      This Inner Loop Header: Depth=4
	s_wait_dscnt 0x0
	s_delay_alu instid0(VALU_DEP_1) | instskip(SKIP_2) | instid1(VALU_DEP_2)
	v_add_nc_u64_e32 v[116:117], v[112:113], v[114:115]
	v_sub_nc_u32_e32 v101, v101, v38
	v_add_nc_u64_e32 v[114:115], v[114:115], v[38:39]
	v_cmp_gt_i32_e32 vcc_lo, 1, v101
	flat_load_u8 v34, v[116:117] th:TH_LOAD_NT
	s_or_b32 s42, vcc_lo, s42
	s_wait_loadcnt_dscnt 0x0
	flat_store_b8 v[116:117], v34 th:TH_STORE_NT
	s_wait_xcnt 0x0
	s_and_not1_b32 exec_lo, exec_lo, s42
	s_cbranch_execnz .LBB6_184
.LBB6_185:                              ;   in Loop: Header=BB6_93 Depth=3
	s_or_b32 exec_lo, exec_lo, s10
	v_cmp_lt_i32_e64 s10, 0, v9
	s_and_saveexec_b32 s42, s1
	s_cbranch_execz .LBB6_204
.LBB6_186:                              ;   in Loop: Header=BB6_93 Depth=3
	s_and_saveexec_b32 s43, s2
	s_delay_alu instid0(SALU_CYCLE_1)
	s_xor_b32 s43, exec_lo, s43
	s_cbranch_execz .LBB6_201
; %bb.187:                              ;   in Loop: Header=BB6_93 Depth=3
	s_and_saveexec_b32 s44, s5
	s_cbranch_execz .LBB6_200
; %bb.188:                              ;   in Loop: Header=BB6_93 Depth=3
	s_mov_b32 s46, exec_lo
	s_mov_b32 s45, exec_lo
	v_mbcnt_lo_u32_b32 v9, s46, 0
	global_wb scope:SCOPE_DEV
	s_wait_storecnt 0x0
	s_wait_loadcnt_dscnt 0x0
	global_inv scope:SCOPE_DEV
	v_cmpx_eq_u32_e32 0, v9
	s_cbranch_execz .LBB6_190
; %bb.189:                              ;   in Loop: Header=BB6_93 Depth=3
	s_bcnt1_i32_b32 s46, s46
	s_delay_alu instid0(SALU_CYCLE_1)
	v_mov_b32_e32 v34, s46
	s_wait_loadcnt 0x0
	ds_add_u64 v0, v[34:35]
	s_trap 2
.LBB6_190:                              ;   in Loop: Header=BB6_93 Depth=3
	s_or_b32 exec_lo, exec_lo, s45
	s_trap 2
	ds_load_b64 v[112:113], v0
	s_wait_dscnt 0x0
	v_add_nc_u64_e32 v[10:11], v[10:11], v[36:37]
	s_mov_b32 s45, exec_lo
	s_delay_alu instid0(VALU_DEP_1)
	v_cmpx_lt_u64_e64 v[112:113], v[10:11]
	s_cbranch_execz .LBB6_199
; %bb.191:                              ;   in Loop: Header=BB6_93 Depth=3
	s_mov_b32 s46, 0
	s_mov_b32 s57, 0
                                        ; implicit-def: $sgpr47
                                        ; implicit-def: $sgpr56
	s_branch .LBB6_193
.LBB6_192:                              ;   in Loop: Header=BB6_193 Depth=4
	s_or_b32 exec_lo, exec_lo, s59
	s_delay_alu instid0(SALU_CYCLE_1) | instskip(NEXT) | instid1(SALU_CYCLE_1)
	s_and_b32 s58, exec_lo, s60
	s_or_b32 s46, s58, s46
	s_and_not1_b32 s47, s47, exec_lo
	s_and_b32 s58, s56, exec_lo
	s_delay_alu instid0(SALU_CYCLE_1)
	s_or_b32 s47, s47, s58
	s_and_not1_b32 exec_lo, exec_lo, s46
	s_cbranch_execz .LBB6_197
.LBB6_193:                              ;   Parent Loop BB6_53 Depth=1
                                        ;     Parent Loop BB6_89 Depth=2
                                        ;       Parent Loop BB6_93 Depth=3
                                        ; =>      This Inner Loop Header: Depth=4
	s_add_co_i32 s57, s57, 1
	s_delay_alu instid0(SALU_CYCLE_1) | instskip(SKIP_1) | instid1(SALU_CYCLE_1)
	s_cmp_lg_u32 s57, 0x2710
	s_cselect_b32 s58, -1, 0
	s_and_b32 vcc_lo, exec_lo, s58
	s_cbranch_vccz .LBB6_195
; %bb.194:                              ;   in Loop: Header=BB6_193 Depth=4
	s_mov_b32 s60, -1
	s_or_b32 s56, s56, exec_lo
	s_and_saveexec_b32 s59, s58
	s_cbranch_execz .LBB6_192
	s_branch .LBB6_196
.LBB6_195:                              ;   in Loop: Header=BB6_193 Depth=4
	s_trap 2
	ds_load_b64 v[112:113], v0
	s_and_not1_b32 s58, s58, exec_lo
	s_mov_b32 s57, 0
	s_wait_loadcnt_dscnt 0x0
	flat_load_b32 v9, v[112:113] scope:SCOPE_SYS
	s_wait_loadcnt_dscnt 0x0
	global_inv scope:SCOPE_SYS
	v_cmp_eq_u32_e32 vcc_lo, 0, v9
	s_and_b32 s59, vcc_lo, exec_lo
	s_delay_alu instid0(SALU_CYCLE_1)
	s_or_b32 s58, s58, s59
	s_mov_b32 s60, -1
	s_or_b32 s56, s56, exec_lo
	s_and_saveexec_b32 s59, s58
	s_cbranch_execz .LBB6_192
.LBB6_196:                              ;   in Loop: Header=BB6_193 Depth=4
	s_sleep 1
	s_trap 2
	ds_load_b64 v[112:113], v0
	s_wait_dscnt 0x0
	s_and_not1_b32 s56, s56, exec_lo
	v_cmp_ge_u64_e32 vcc_lo, v[112:113], v[10:11]
	s_or_not1_b32 s60, vcc_lo, exec_lo
	s_branch .LBB6_192
.LBB6_197:                              ;   in Loop: Header=BB6_93 Depth=3
	s_or_b32 exec_lo, exec_lo, s46
	s_and_saveexec_b32 s46, s47
	s_delay_alu instid0(SALU_CYCLE_1)
	s_xor_b32 s46, exec_lo, s46
	s_cbranch_execz .LBB6_199
; %bb.198:                              ;   in Loop: Header=BB6_93 Depth=3
	ds_store_b32 v0, v57
	s_trap 2
.LBB6_199:                              ;   in Loop: Header=BB6_93 Depth=3
	s_or_b32 exec_lo, exec_lo, s45
	;;#ASMSTART
	s_wakeup
	;;#ASMEND
.LBB6_200:                              ;   in Loop: Header=BB6_93 Depth=3
	s_or_b32 exec_lo, exec_lo, s44
.LBB6_201:                              ;   in Loop: Header=BB6_93 Depth=3
	s_and_not1_saveexec_b32 s43, s43
	s_cbranch_execz .LBB6_203
; %bb.202:                              ;   in Loop: Header=BB6_93 Depth=3
	global_wb scope:SCOPE_DEV
	s_wait_storecnt 0x0
	s_wait_loadcnt_dscnt 0x0
	global_inv scope:SCOPE_DEV
	s_barrier_signal -1
	s_barrier_wait -1
.LBB6_203:                              ;   in Loop: Header=BB6_93 Depth=3
	s_or_b32 exec_lo, exec_lo, s43
.LBB6_204:                              ;   in Loop: Header=BB6_93 Depth=3
	s_delay_alu instid0(SALU_CYCLE_1) | instskip(SKIP_1) | instid1(VALU_DEP_1)
	s_or_b32 exec_lo, exec_lo, s42
	v_and_b32_e32 v9, 16, v82
	v_cmp_ne_u32_e32 vcc_lo, 0, v9
	s_and_b32 s42, vcc_lo, s10
	s_delay_alu instid0(SALU_CYCLE_1)
	s_and_saveexec_b32 s10, s42
	s_cbranch_execz .LBB6_206
; %bb.205:                              ;   in Loop: Header=BB6_93 Depth=3
	global_wb scope:SCOPE_SYS
	s_wait_storecnt 0x0
	s_wait_loadcnt_dscnt 0x0
	global_inv scope:SCOPE_SYS
.LBB6_206:                              ;   in Loop: Header=BB6_93 Depth=3
	s_or_b32 exec_lo, exec_lo, s10
	s_delay_alu instid0(SALU_CYCLE_1)
	s_mov_b32 s10, exec_lo
	v_cmpx_ne_u32_e32 0, v9
	s_cbranch_execz .LBB6_92
; %bb.207:                              ;   in Loop: Header=BB6_93 Depth=3
	s_and_saveexec_b32 s42, s4
	s_cbranch_execz .LBB6_91
; %bb.208:                              ;   in Loop: Header=BB6_93 Depth=3
	global_wb scope:SCOPE_SYS
	s_wait_storecnt 0x0
	s_wait_loadcnt_dscnt 0x0
	flat_store_b32 v[24:25], v57 scope:SCOPE_SYS
	s_branch .LBB6_91
.LBB6_209:                              ;   in Loop: Header=BB6_89 Depth=2
	s_or_b32 exec_lo, exec_lo, s29
.LBB6_210:                              ;   in Loop: Header=BB6_89 Depth=2
	s_delay_alu instid0(SALU_CYCLE_1) | instskip(NEXT) | instid1(SALU_CYCLE_1)
	s_or_b32 exec_lo, exec_lo, s28
	s_mov_b32 s28, exec_lo
	v_cmpx_gt_i32_e32 2, v9
	s_cbranch_execz .LBB6_261
; %bb.211:                              ;   in Loop: Header=BB6_89 Depth=2
	v_cmp_eq_u32_e64 s40, 0, v9
	s_mov_b32 s29, 0
	s_branch .LBB6_214
.LBB6_212:                              ;   in Loop: Header=BB6_214 Depth=3
	s_wait_xcnt 0x0
	s_or_b32 exec_lo, exec_lo, s40
	v_add_nc_u64_e32 v[84:85], 2, v[84:85]
	global_wb scope:SCOPE_SYS
	s_wait_storecnt 0x0
	s_wait_loadcnt_dscnt 0x0
	flat_store_b64 v[18:19], v[84:85] scope:SCOPE_SYS
.LBB6_213:                              ;   in Loop: Header=BB6_214 Depth=3
	s_wait_xcnt 0x0
	s_or_b32 exec_lo, exec_lo, s10
	v_add_nc_u32_e32 v102, v100, v102
	s_mov_b32 s40, 0
	s_and_not1_b32 exec_lo, exec_lo, s29
	s_cbranch_execz .LBB6_260
.LBB6_214:                              ;   Parent Loop BB6_53 Depth=1
                                        ;     Parent Loop BB6_89 Depth=2
                                        ; =>    This Loop Header: Depth=3
                                        ;         Child Loop BB6_220 Depth 4
                                        ;         Child Loop BB6_244 Depth 4
	s_delay_alu instid0(VALU_DEP_1) | instskip(SKIP_2) | instid1(VALU_DEP_2)
	v_sub_nc_u32_e32 v9, v8, v102
	v_and_b32_e32 v34, 8, v82
	s_mov_b32 s41, exec_lo
	v_min_i32_e32 v100, v100, v9
	s_delay_alu instid0(VALU_DEP_2)
	v_cmpx_ne_u32_e32 0, v34
	s_cbranch_execz .LBB6_236
; %bb.215:                              ;   in Loop: Header=BB6_214 Depth=3
	s_wait_loadcnt 0x0
	v_add_nc_u64_e32 v[114:115], 8, v[26:27]
	v_add_nc_u64_e32 v[112:113], 2, v[84:85]
	s_mov_b32 s42, exec_lo
	s_delay_alu instid0(VALU_DEP_1)
	v_cmpx_lt_u64_e64 v[114:115], v[112:113]
	s_cbranch_execz .LBB6_227
; %bb.216:                              ;   in Loop: Header=BB6_214 Depth=3
	v_and_b32_e32 v9, 64, v82
	s_mov_b32 s43, 0
	s_mov_b32 s47, 0
                                        ; implicit-def: $sgpr44
                                        ; implicit-def: $sgpr45
                                        ; implicit-def: $sgpr46
	s_delay_alu instid0(VALU_DEP_1)
	v_cmp_eq_u32_e32 vcc_lo, 0, v9
	s_branch .LBB6_220
.LBB6_217:                              ;   in Loop: Header=BB6_220 Depth=4
	s_wait_loadcnt_dscnt 0x0
	v_add_nc_u64_e32 v[114:115], 8, v[26:27]
	s_or_b32 s58, s58, exec_lo
	s_delay_alu instid0(VALU_DEP_1)
	v_cmp_ge_u64_e64 s10, v[114:115], v[112:113]
	s_or_not1_b32 s57, s10, exec_lo
.LBB6_218:                              ;   in Loop: Header=BB6_220 Depth=4
	s_or_b32 exec_lo, exec_lo, s60
	s_delay_alu instid0(SALU_CYCLE_1)
	s_and_not1_b32 s10, s46, exec_lo
	s_and_b32 s46, s58, exec_lo
	s_and_not1_b32 s45, s45, exec_lo
	s_and_b32 s57, s57, exec_lo
	s_or_b32 s46, s10, s46
	s_or_b32 s45, s45, s57
.LBB6_219:                              ;   in Loop: Header=BB6_220 Depth=4
	s_or_b32 exec_lo, exec_lo, s56
	s_delay_alu instid0(SALU_CYCLE_1) | instskip(NEXT) | instid1(SALU_CYCLE_1)
	s_and_b32 s10, exec_lo, s45
	s_or_b32 s43, s10, s43
	s_and_not1_b32 s10, s44, exec_lo
	s_and_b32 s44, s46, exec_lo
	s_delay_alu instid0(SALU_CYCLE_1)
	s_or_b32 s44, s10, s44
	s_and_not1_b32 exec_lo, exec_lo, s43
	s_cbranch_execz .LBB6_224
.LBB6_220:                              ;   Parent Loop BB6_53 Depth=1
                                        ;     Parent Loop BB6_89 Depth=2
                                        ;       Parent Loop BB6_214 Depth=3
                                        ; =>      This Inner Loop Header: Depth=4
	s_sleep 1
	s_wait_loadcnt_dscnt 0x0
	flat_load_b64 v[26:27], v[18:19] scope:SCOPE_SYS
	s_or_b32 s46, s46, exec_lo
	s_or_b32 s45, s45, exec_lo
                                        ; implicit-def: $vgpr9
	s_wait_xcnt 0x0
	s_and_saveexec_b32 s56, vcc_lo
	s_cbranch_execz .LBB6_219
; %bb.221:                              ;   in Loop: Header=BB6_220 Depth=4
	s_cmp_lt_i32 s47, 0x270f
	s_mov_b32 s57, -1
	s_cselect_b32 s59, -1, 0
	s_cmp_gt_i32 s47, 0x270e
	s_cbranch_scc0 .LBB6_223
; %bb.222:                              ;   in Loop: Header=BB6_220 Depth=4
	s_trap 2
	ds_load_b64 v[114:115], v0
	s_and_not1_b32 s47, s59, exec_lo
	s_mov_b32 s58, 0
	s_wait_storecnt 0x0
	s_wait_loadcnt_dscnt 0x0
	flat_load_b32 v9, v[114:115] scope:SCOPE_SYS
	s_wait_loadcnt_dscnt 0x0
	global_inv scope:SCOPE_SYS
	v_cmp_eq_u32_e64 s10, 0, v9
	s_and_b32 s10, s10, exec_lo
	s_delay_alu instid0(SALU_CYCLE_1)
	s_or_b32 s59, s47, s10
	s_mov_b32 s47, 0
	s_and_saveexec_b32 s60, s59
	s_cbranch_execz .LBB6_218
	s_branch .LBB6_217
.LBB6_223:                              ;   in Loop: Header=BB6_220 Depth=4
	s_add_co_i32 s47, s47, 1
	s_mov_b32 s58, -1
                                        ; implicit-def: $vgpr9
	s_and_saveexec_b32 s60, s59
	s_cbranch_execz .LBB6_218
	s_branch .LBB6_217
.LBB6_224:                              ;   in Loop: Header=BB6_214 Depth=3
	s_or_b32 exec_lo, exec_lo, s43
	s_xor_b32 s10, s44, -1
	s_delay_alu instid0(SALU_CYCLE_1) | instskip(NEXT) | instid1(SALU_CYCLE_1)
	s_and_saveexec_b32 s43, s10
	s_xor_b32 s10, exec_lo, s43
	s_cbranch_execz .LBB6_226
; %bb.225:                              ;   in Loop: Header=BB6_214 Depth=3
	v_or_b32_e32 v82, 64, v82
	s_wait_storecnt 0x0
	s_wait_loadcnt_dscnt 0x0
	ds_store_b32 v0, v9
	s_trap 2
.LBB6_226:                              ;   in Loop: Header=BB6_214 Depth=3
	s_or_b32 exec_lo, exec_lo, s10
.LBB6_227:                              ;   in Loop: Header=BB6_214 Depth=3
	s_delay_alu instid0(SALU_CYCLE_1)
	s_or_b32 exec_lo, exec_lo, s42
	v_and_b32_e32 v9, 0x100, v82
	v_and_b32_e32 v34, 7, v84
	s_mov_b32 s10, -1
	s_mov_b32 s42, exec_lo
	;;#ASMSTART
	s_wakeup
	;;#ASMEND
                                        ; implicit-def: $vgpr84_vgpr85
	v_cmpx_ne_u32_e32 0, v9
	s_cbranch_execz .LBB6_231
; %bb.228:                              ;   in Loop: Header=BB6_214 Depth=3
	v_mad_nc_u64_u32 v[114:115], v34, 24, v[4:5]
	v_ashrrev_i32_e32 v101, 31, v100
	s_mov_b32 s43, exec_lo
                                        ; implicit-def: $vgpr84_vgpr85
	s_clause 0x1
	flat_load_b32 v9, v[114:115]
	flat_store_b64 v[114:115], v[100:101] offset:8
	s_wait_loadcnt_dscnt 0x1
	v_cmp_ne_u32_e32 vcc_lo, 1, v9
	s_wait_xcnt 0x0
	v_cmpx_eq_u32_e32 1, v9
	s_cbranch_execz .LBB6_230
; %bb.229:                              ;   in Loop: Header=BB6_214 Depth=3
	flat_load_b32 v84, v[114:115] offset:4 scope:SCOPE_SYS
	s_wait_loadcnt_dscnt 0x0
	v_ashrrev_i32_e32 v85, 31, v84
.LBB6_230:                              ;   in Loop: Header=BB6_214 Depth=3
	s_wait_xcnt 0x0
	s_or_b32 exec_lo, exec_lo, s43
	s_delay_alu instid0(SALU_CYCLE_1)
	s_or_not1_b32 s10, vcc_lo, exec_lo
.LBB6_231:                              ;   in Loop: Header=BB6_214 Depth=3
	s_or_b32 exec_lo, exec_lo, s42
	s_and_saveexec_b32 s42, s10
; %bb.232:                              ;   in Loop: Header=BB6_214 Depth=3
	v_mul_u64_e32 v[84:85], v[34:35], v[20:21]
; %bb.233:                              ;   in Loop: Header=BB6_214 Depth=3
	s_or_b32 exec_lo, exec_lo, s42
	s_delay_alu instid0(VALU_DEP_1)
	v_add_nc_u64_e32 v[84:85], v[22:23], v[84:85]
	v_and_b32_e32 v9, 0x2000, v82
	s_mov_b32 s10, exec_lo
	ds_store_b64 v0, v[84:85] offset:784
	v_cmpx_ne_u32_e32 0, v9
	s_cbranch_execz .LBB6_235
; %bb.234:                              ;   in Loop: Header=BB6_214 Depth=3
	ds_load_b64 v[84:85], v0 offset:872
	s_wait_dscnt 0x0
	v_add_nc_u64_e32 v[84:85], 1, v[84:85]
	ds_store_b64 v0, v[84:85] offset:872
.LBB6_235:                              ;   in Loop: Header=BB6_214 Depth=3
	s_or_b32 exec_lo, exec_lo, s10
	v_mov_b64_e32 v[84:85], v[112:113]
.LBB6_236:                              ;   in Loop: Header=BB6_214 Depth=3
	s_or_b32 exec_lo, exec_lo, s41
	s_xor_b32 s10, s40, -1
	s_delay_alu instid0(SALU_CYCLE_1) | instskip(NEXT) | instid1(SALU_CYCLE_1)
	s_and_b32 s10, exec_lo, s10
	s_or_b32 s29, s10, s29
	s_and_saveexec_b32 s10, s1
	s_cbranch_execz .LBB6_255
; %bb.237:                              ;   in Loop: Header=BB6_214 Depth=3
	s_and_saveexec_b32 s40, s2
	s_delay_alu instid0(SALU_CYCLE_1)
	s_xor_b32 s40, exec_lo, s40
	s_cbranch_execz .LBB6_252
; %bb.238:                              ;   in Loop: Header=BB6_214 Depth=3
	s_and_saveexec_b32 s41, s5
	s_cbranch_execz .LBB6_251
; %bb.239:                              ;   in Loop: Header=BB6_214 Depth=3
	s_mov_b32 s43, exec_lo
	s_mov_b32 s42, exec_lo
	v_mbcnt_lo_u32_b32 v9, s43, 0
	global_wb scope:SCOPE_DEV
	s_wait_storecnt 0x0
	s_wait_loadcnt_dscnt 0x0
	global_inv scope:SCOPE_DEV
	v_cmpx_eq_u32_e32 0, v9
	s_cbranch_execz .LBB6_241
; %bb.240:                              ;   in Loop: Header=BB6_214 Depth=3
	s_bcnt1_i32_b32 s43, s43
	s_delay_alu instid0(SALU_CYCLE_1)
	v_mov_b32_e32 v34, s43
	s_wait_loadcnt 0x0
	ds_add_u64 v0, v[34:35]
	s_trap 2
.LBB6_241:                              ;   in Loop: Header=BB6_214 Depth=3
	s_or_b32 exec_lo, exec_lo, s42
	s_trap 2
	ds_load_b64 v[112:113], v0
	s_wait_dscnt 0x0
	v_add_nc_u64_e32 v[10:11], v[10:11], v[36:37]
	s_mov_b32 s42, exec_lo
	s_delay_alu instid0(VALU_DEP_1)
	v_cmpx_lt_u64_e64 v[112:113], v[10:11]
	s_cbranch_execz .LBB6_250
; %bb.242:                              ;   in Loop: Header=BB6_214 Depth=3
	s_mov_b32 s43, 0
	s_mov_b32 s46, 0
                                        ; implicit-def: $sgpr44
                                        ; implicit-def: $sgpr45
	s_branch .LBB6_244
.LBB6_243:                              ;   in Loop: Header=BB6_244 Depth=4
	s_or_b32 exec_lo, exec_lo, s56
	s_delay_alu instid0(SALU_CYCLE_1) | instskip(NEXT) | instid1(SALU_CYCLE_1)
	s_and_b32 s47, exec_lo, s57
	s_or_b32 s43, s47, s43
	s_and_not1_b32 s44, s44, exec_lo
	s_and_b32 s47, s45, exec_lo
	s_delay_alu instid0(SALU_CYCLE_1)
	s_or_b32 s44, s44, s47
	s_and_not1_b32 exec_lo, exec_lo, s43
	s_cbranch_execz .LBB6_248
.LBB6_244:                              ;   Parent Loop BB6_53 Depth=1
                                        ;     Parent Loop BB6_89 Depth=2
                                        ;       Parent Loop BB6_214 Depth=3
                                        ; =>      This Inner Loop Header: Depth=4
	s_add_co_i32 s46, s46, 1
	s_delay_alu instid0(SALU_CYCLE_1) | instskip(SKIP_1) | instid1(SALU_CYCLE_1)
	s_cmp_lg_u32 s46, 0x2710
	s_cselect_b32 s47, -1, 0
	s_and_b32 vcc_lo, exec_lo, s47
	s_cbranch_vccz .LBB6_246
; %bb.245:                              ;   in Loop: Header=BB6_244 Depth=4
	s_mov_b32 s57, -1
	s_or_b32 s45, s45, exec_lo
	s_and_saveexec_b32 s56, s47
	s_cbranch_execz .LBB6_243
	s_branch .LBB6_247
.LBB6_246:                              ;   in Loop: Header=BB6_244 Depth=4
	s_trap 2
	ds_load_b64 v[112:113], v0
	s_and_not1_b32 s47, s47, exec_lo
	s_mov_b32 s46, 0
	s_wait_loadcnt_dscnt 0x0
	flat_load_b32 v9, v[112:113] scope:SCOPE_SYS
	s_wait_loadcnt_dscnt 0x0
	global_inv scope:SCOPE_SYS
	v_cmp_eq_u32_e32 vcc_lo, 0, v9
	s_and_b32 s56, vcc_lo, exec_lo
	s_delay_alu instid0(SALU_CYCLE_1)
	s_or_b32 s47, s47, s56
	s_mov_b32 s57, -1
	s_or_b32 s45, s45, exec_lo
	s_and_saveexec_b32 s56, s47
	s_cbranch_execz .LBB6_243
.LBB6_247:                              ;   in Loop: Header=BB6_244 Depth=4
	s_sleep 1
	s_trap 2
	ds_load_b64 v[112:113], v0
	s_wait_dscnt 0x0
	s_and_not1_b32 s45, s45, exec_lo
	v_cmp_ge_u64_e32 vcc_lo, v[112:113], v[10:11]
	s_or_not1_b32 s57, vcc_lo, exec_lo
	s_branch .LBB6_243
.LBB6_248:                              ;   in Loop: Header=BB6_214 Depth=3
	s_or_b32 exec_lo, exec_lo, s43
	s_and_saveexec_b32 s43, s44
	s_delay_alu instid0(SALU_CYCLE_1)
	s_xor_b32 s43, exec_lo, s43
	s_cbranch_execz .LBB6_250
; %bb.249:                              ;   in Loop: Header=BB6_214 Depth=3
	ds_store_b32 v0, v57
	s_trap 2
.LBB6_250:                              ;   in Loop: Header=BB6_214 Depth=3
	s_or_b32 exec_lo, exec_lo, s42
	;;#ASMSTART
	s_wakeup
	;;#ASMEND
.LBB6_251:                              ;   in Loop: Header=BB6_214 Depth=3
	s_or_b32 exec_lo, exec_lo, s41
.LBB6_252:                              ;   in Loop: Header=BB6_214 Depth=3
	s_and_not1_saveexec_b32 s40, s40
	s_cbranch_execz .LBB6_254
; %bb.253:                              ;   in Loop: Header=BB6_214 Depth=3
	global_wb scope:SCOPE_DEV
	s_wait_storecnt 0x0
	s_wait_loadcnt_dscnt 0x0
	global_inv scope:SCOPE_DEV
	s_barrier_signal -1
	s_barrier_wait -1
.LBB6_254:                              ;   in Loop: Header=BB6_214 Depth=3
	s_or_b32 exec_lo, exec_lo, s40
.LBB6_255:                              ;   in Loop: Header=BB6_214 Depth=3
	s_delay_alu instid0(SALU_CYCLE_1)
	s_or_b32 exec_lo, exec_lo, s10
	s_trap 2
	ds_load_b32 v9, v0
	v_cmp_lt_i32_e32 vcc_lo, 0, v100
	s_wait_dscnt 0x0
	v_readfirstlane_b32 s10, v9
	v_and_b32_e32 v9, 16, v82
	s_cmp_eq_u32 s10, 0
	s_delay_alu instid0(VALU_DEP_1) | instskip(SKIP_1) | instid1(SALU_CYCLE_1)
	v_cmp_ne_u32_e64 s10, 0, v9
	s_cselect_b32 s40, -1, 0
	s_and_b32 s40, vcc_lo, s40
	s_delay_alu instid0(SALU_CYCLE_1) | instskip(NEXT) | instid1(SALU_CYCLE_1)
	s_and_b32 s40, s10, s40
	s_and_saveexec_b32 s10, s40
	s_cbranch_execz .LBB6_257
; %bb.256:                              ;   in Loop: Header=BB6_214 Depth=3
	global_wb scope:SCOPE_SYS
	s_wait_loadcnt 0x0
	s_wait_storecnt 0x0
	global_inv scope:SCOPE_SYS
.LBB6_257:                              ;   in Loop: Header=BB6_214 Depth=3
	s_or_b32 exec_lo, exec_lo, s10
	s_delay_alu instid0(SALU_CYCLE_1)
	s_mov_b32 s10, exec_lo
	v_cmpx_ne_u32_e32 0, v9
	s_cbranch_execz .LBB6_213
; %bb.258:                              ;   in Loop: Header=BB6_214 Depth=3
	s_and_saveexec_b32 s40, s4
	s_cbranch_execz .LBB6_212
; %bb.259:                              ;   in Loop: Header=BB6_214 Depth=3
	global_wb scope:SCOPE_SYS
	s_wait_loadcnt 0x0
	s_wait_storecnt 0x0
	flat_store_b32 v[24:25], v57 scope:SCOPE_SYS
	s_branch .LBB6_212
.LBB6_260:                              ;   in Loop: Header=BB6_89 Depth=2
	s_or_b32 exec_lo, exec_lo, s29
.LBB6_261:                              ;   in Loop: Header=BB6_89 Depth=2
	s_delay_alu instid0(SALU_CYCLE_1) | instskip(NEXT) | instid1(SALU_CYCLE_1)
	s_or_b32 exec_lo, exec_lo, s28
	s_and_not1_b32 vcc_lo, exec_lo, s26
	s_cbranch_vccnz .LBB6_444
; %bb.262:                              ;   in Loop: Header=BB6_89 Depth=2
	v_max_i32_e32 v116, 0, v8
	s_mov_b32 s28, 0
	s_delay_alu instid0(VALU_DEP_1) | instskip(NEXT) | instid1(VALU_DEP_1)
	v_add_nc_u32_e32 v8, 31, v116
	v_lshrrev_b32_e32 v8, 1, v8
	s_delay_alu instid0(VALU_DEP_1) | instskip(NEXT) | instid1(VALU_DEP_1)
	v_and_b32_e32 v8, 0x3ffffff0, v8
	v_max_i32_e32 v117, s21, v8
	s_branch .LBB6_265
.LBB6_263:                              ;   in Loop: Header=BB6_265 Depth=3
	s_or_b32 exec_lo, exec_lo, s40
.LBB6_264:                              ;   in Loop: Header=BB6_265 Depth=3
	s_delay_alu instid0(SALU_CYCLE_1) | instskip(SKIP_1) | instid1(SALU_CYCLE_1)
	s_or_b32 exec_lo, exec_lo, s29
	s_add_co_i32 s28, s28, 1
	s_cmp_eq_u32 s28, s18
	s_cbranch_scc1 .LBB6_444
.LBB6_265:                              ;   Parent Loop BB6_53 Depth=1
                                        ;     Parent Loop BB6_89 Depth=2
                                        ; =>    This Loop Header: Depth=3
                                        ;         Child Loop BB6_268 Depth 4
                                        ;           Child Loop BB6_276 Depth 5
                                        ;           Child Loop BB6_304 Depth 5
	;; [unrolled: 1-line block ×8, first 2 shown]
                                        ;         Child Loop BB6_393 Depth 4
                                        ;           Child Loop BB6_399 Depth 5
                                        ;           Child Loop BB6_427 Depth 5
	s_delay_alu instid0(VALU_DEP_1)
	v_dual_mov_b32 v9, 0 :: v_dual_mov_b32 v8, v117
	v_mov_b32_e32 v118, 0
	s_and_saveexec_b32 s29, s27
	s_cbranch_execz .LBB6_390
; %bb.266:                              ;   in Loop: Header=BB6_265 Depth=3
	v_dual_mov_b32 v118, 0 :: v_dual_mov_b32 v8, v117
	s_mov_b32 s42, 1
	s_mov_b32 s41, -1
	s_mov_b32 s40, 0
	s_branch .LBB6_268
.LBB6_267:                              ;   in Loop: Header=BB6_268 Depth=4
	s_wait_xcnt 0x0
	s_or_b32 exec_lo, exec_lo, s10
	v_dual_mov_b32 v9, s42 :: v_dual_add_nc_u32 v118, v8, v118
	s_xor_b32 s10, s41, -1
	s_mov_b32 s41, 0
	s_mov_b32 s42, 2
	s_delay_alu instid0(VALU_DEP_1) | instskip(SKIP_1) | instid1(SALU_CYCLE_1)
	v_cmp_ge_i32_e32 vcc_lo, v118, v116
	s_or_b32 s10, s10, vcc_lo
	s_and_b32 s10, exec_lo, s10
	s_delay_alu instid0(SALU_CYCLE_1) | instskip(NEXT) | instid1(SALU_CYCLE_1)
	s_or_b32 s40, s10, s40
	s_and_not1_b32 exec_lo, exec_lo, s40
	s_cbranch_execz .LBB6_389
.LBB6_268:                              ;   Parent Loop BB6_53 Depth=1
                                        ;     Parent Loop BB6_89 Depth=2
                                        ;       Parent Loop BB6_265 Depth=3
                                        ; =>      This Loop Header: Depth=4
                                        ;           Child Loop BB6_276 Depth 5
                                        ;           Child Loop BB6_304 Depth 5
	;; [unrolled: 1-line block ×8, first 2 shown]
	s_and_saveexec_b32 s10, s0
	s_cbranch_execz .LBB6_270
; %bb.269:                              ;   in Loop: Header=BB6_268 Depth=4
	ds_store_b64 v0, v[48:49]
	s_trap 2
.LBB6_270:                              ;   in Loop: Header=BB6_268 Depth=4
	s_or_b32 exec_lo, exec_lo, s10
	v_sub_nc_u32_e32 v9, v116, v118
	v_and_b32_e32 v34, 12, v82
	s_mov_b32 s43, exec_lo
	s_delay_alu instid0(VALU_DEP_2) | instskip(NEXT) | instid1(VALU_DEP_2)
	v_min_i32_e32 v8, v8, v9
	v_cmpx_ne_u32_e32 0, v34
	s_cbranch_execz .LBB6_296
; %bb.271:                              ;   in Loop: Header=BB6_268 Depth=4
	v_and_b32_e32 v34, 8, v82
	v_add_nc_u64_e32 v[100:101], 2, v[84:85]
	s_mov_b32 s44, exec_lo
	s_wait_loadcnt 0x0
	s_delay_alu instid0(VALU_DEP_2) | instskip(NEXT) | instid1(VALU_DEP_1)
	v_add_nc_u64_e32 v[102:103], v[26:27], v[34:35]
	v_cmpx_lt_u64_e64 v[102:103], v[100:101]
	s_cbranch_execz .LBB6_283
; %bb.272:                              ;   in Loop: Header=BB6_268 Depth=4
	v_and_b32_e32 v9, 64, v82
	s_mov_b32 s45, 0
	s_mov_b32 s57, 0
                                        ; implicit-def: $sgpr46
                                        ; implicit-def: $sgpr47
                                        ; implicit-def: $sgpr56
	s_delay_alu instid0(VALU_DEP_1)
	v_cmp_eq_u32_e32 vcc_lo, 0, v9
	s_branch .LBB6_276
.LBB6_273:                              ;   in Loop: Header=BB6_276 Depth=5
	s_wait_loadcnt_dscnt 0x0
	v_add_nc_u64_e32 v[102:103], v[26:27], v[34:35]
	s_or_b32 s60, s60, exec_lo
	s_delay_alu instid0(VALU_DEP_1)
	v_cmp_ge_u64_e64 s10, v[102:103], v[100:101]
	s_or_not1_b32 s59, s10, exec_lo
.LBB6_274:                              ;   in Loop: Header=BB6_276 Depth=5
	s_or_b32 exec_lo, exec_lo, s62
	s_delay_alu instid0(SALU_CYCLE_1)
	s_and_not1_b32 s10, s56, exec_lo
	s_and_b32 s56, s60, exec_lo
	s_and_not1_b32 s47, s47, exec_lo
	s_and_b32 s59, s59, exec_lo
	s_or_b32 s56, s10, s56
	s_or_b32 s47, s47, s59
.LBB6_275:                              ;   in Loop: Header=BB6_276 Depth=5
	s_or_b32 exec_lo, exec_lo, s58
	s_delay_alu instid0(SALU_CYCLE_1) | instskip(NEXT) | instid1(SALU_CYCLE_1)
	s_and_b32 s10, exec_lo, s47
	s_or_b32 s45, s10, s45
	s_and_not1_b32 s10, s46, exec_lo
	s_and_b32 s46, s56, exec_lo
	s_delay_alu instid0(SALU_CYCLE_1)
	s_or_b32 s46, s10, s46
	s_and_not1_b32 exec_lo, exec_lo, s45
	s_cbranch_execz .LBB6_280
.LBB6_276:                              ;   Parent Loop BB6_53 Depth=1
                                        ;     Parent Loop BB6_89 Depth=2
                                        ;       Parent Loop BB6_265 Depth=3
                                        ;         Parent Loop BB6_268 Depth=4
                                        ; =>        This Inner Loop Header: Depth=5
	s_sleep 1
	s_wait_loadcnt_dscnt 0x0
	flat_load_b64 v[26:27], v[18:19] scope:SCOPE_SYS
	s_or_b32 s56, s56, exec_lo
	s_or_b32 s47, s47, exec_lo
                                        ; implicit-def: $vgpr9
	s_wait_xcnt 0x0
	s_and_saveexec_b32 s58, vcc_lo
	s_cbranch_execz .LBB6_275
; %bb.277:                              ;   in Loop: Header=BB6_276 Depth=5
	s_cmp_lt_i32 s57, 0x270f
	s_mov_b32 s59, -1
	s_cselect_b32 s61, -1, 0
	s_cmp_gt_i32 s57, 0x270e
	s_cbranch_scc0 .LBB6_279
; %bb.278:                              ;   in Loop: Header=BB6_276 Depth=5
	s_trap 2
	ds_load_b64 v[102:103], v0
	s_and_not1_b32 s57, s61, exec_lo
	s_mov_b32 s60, 0
	s_wait_storecnt 0x0
	s_wait_loadcnt_dscnt 0x0
	flat_load_b32 v9, v[102:103] scope:SCOPE_SYS
	s_wait_loadcnt_dscnt 0x0
	global_inv scope:SCOPE_SYS
	v_cmp_eq_u32_e64 s10, 0, v9
	s_and_b32 s10, s10, exec_lo
	s_delay_alu instid0(SALU_CYCLE_1)
	s_or_b32 s61, s57, s10
	s_mov_b32 s57, 0
	s_and_saveexec_b32 s62, s61
	s_cbranch_execz .LBB6_274
	s_branch .LBB6_273
.LBB6_279:                              ;   in Loop: Header=BB6_276 Depth=5
	s_add_co_i32 s57, s57, 1
	s_mov_b32 s60, -1
                                        ; implicit-def: $vgpr9
	s_and_saveexec_b32 s62, s61
	s_cbranch_execz .LBB6_274
	s_branch .LBB6_273
.LBB6_280:                              ;   in Loop: Header=BB6_268 Depth=4
	s_or_b32 exec_lo, exec_lo, s45
	s_xor_b32 s10, s46, -1
	s_delay_alu instid0(SALU_CYCLE_1) | instskip(NEXT) | instid1(SALU_CYCLE_1)
	s_and_saveexec_b32 s45, s10
	s_xor_b32 s10, exec_lo, s45
	s_cbranch_execz .LBB6_282
; %bb.281:                              ;   in Loop: Header=BB6_268 Depth=4
	v_or_b32_e32 v82, 64, v82
	s_wait_storecnt 0x0
	s_wait_loadcnt_dscnt 0x0
	ds_store_b32 v0, v9
	s_trap 2
.LBB6_282:                              ;   in Loop: Header=BB6_268 Depth=4
	s_or_b32 exec_lo, exec_lo, s10
.LBB6_283:                              ;   in Loop: Header=BB6_268 Depth=4
	s_delay_alu instid0(SALU_CYCLE_1) | instskip(SKIP_4) | instid1(VALU_DEP_2)
	s_or_b32 exec_lo, exec_lo, s44
	v_and_b32_e32 v9, 0x108, v82
	v_and_b32_e32 v84, 7, v84
	s_mov_b32 s10, exec_lo
	;;#ASMSTART
	s_wakeup
	;;#ASMEND
	v_cmpx_ne_u32_e32 0x108, v9
	s_xor_b32 s10, exec_lo, s10
; %bb.284:                              ;   in Loop: Header=BB6_268 Depth=4
	v_mov_b32_e32 v85, v35
; %bb.285:                              ;   in Loop: Header=BB6_268 Depth=4
	s_and_not1_saveexec_b32 s10, s10
	s_cbranch_execz .LBB6_287
; %bb.286:                              ;   in Loop: Header=BB6_268 Depth=4
	v_mad_nc_u64_u32 v[102:103], v84, 24, v[4:5]
	v_dual_ashrrev_i32 v9, 31, v8 :: v_dual_mov_b32 v85, v35
	flat_store_b64 v[102:103], v[8:9] offset:8
.LBB6_287:                              ;   in Loop: Header=BB6_268 Depth=4
	s_wait_xcnt 0x0
	s_or_b32 exec_lo, exec_lo, s10
	v_and_b32_e32 v9, 0x100, v82
	s_mov_b32 s10, -1
	s_mov_b32 s44, exec_lo
                                        ; implicit-def: $vgpr102_vgpr103
	s_delay_alu instid0(VALU_DEP_1)
	v_cmpx_ne_u32_e32 0, v9
	s_cbranch_execz .LBB6_291
; %bb.288:                              ;   in Loop: Header=BB6_268 Depth=4
	v_mad_nc_u64_u32 v[112:113], v84, 24, v[4:5]
	s_mov_b32 s45, exec_lo
                                        ; implicit-def: $vgpr102_vgpr103
	s_delay_alu instid0(VALU_DEP_1)
	v_mad_u32 v113, v85, 24, v113
	flat_load_b32 v9, v[112:113]
	s_wait_loadcnt_dscnt 0x0
	v_cmp_ne_u32_e32 vcc_lo, 1, v9
	s_wait_xcnt 0x0
	v_cmpx_eq_u32_e32 1, v9
	s_cbranch_execz .LBB6_290
; %bb.289:                              ;   in Loop: Header=BB6_268 Depth=4
	flat_load_b32 v102, v[112:113] offset:4 scope:SCOPE_SYS
	s_wait_loadcnt_dscnt 0x0
	v_ashrrev_i32_e32 v103, 31, v102
.LBB6_290:                              ;   in Loop: Header=BB6_268 Depth=4
	s_wait_xcnt 0x0
	s_or_b32 exec_lo, exec_lo, s45
	s_delay_alu instid0(SALU_CYCLE_1)
	s_or_not1_b32 s10, vcc_lo, exec_lo
.LBB6_291:                              ;   in Loop: Header=BB6_268 Depth=4
	s_or_b32 exec_lo, exec_lo, s44
	s_and_saveexec_b32 s44, s10
; %bb.292:                              ;   in Loop: Header=BB6_268 Depth=4
	v_mul_u64_e32 v[102:103], v[84:85], v[20:21]
; %bb.293:                              ;   in Loop: Header=BB6_268 Depth=4
	s_or_b32 exec_lo, exec_lo, s44
	v_cmp_eq_u32_e32 vcc_lo, 0, v34
	s_delay_alu instid0(VALU_DEP_2) | instskip(SKIP_3) | instid1(VALU_DEP_1)
	v_add_nc_u64_e32 v[84:85], v[22:23], v[102:103]
	v_and_b32_e32 v34, 0x2000, v82
	s_mov_b32 s10, exec_lo
	v_cndmask_b32_e32 v9, 0xc8, v59, vcc_lo
	v_add_nc_u32_e32 v9, v0, v9
	ds_store_b64 v9, v[84:85] offset:584
	v_cmpx_ne_u32_e32 0, v34
	s_cbranch_execz .LBB6_295
; %bb.294:                              ;   in Loop: Header=BB6_268 Depth=4
	ds_load_b64 v[84:85], v0 offset:872
	s_wait_dscnt 0x0
	v_add_nc_u64_e32 v[84:85], 1, v[84:85]
	ds_store_b64 v0, v[84:85] offset:872
.LBB6_295:                              ;   in Loop: Header=BB6_268 Depth=4
	s_or_b32 exec_lo, exec_lo, s10
	v_mov_b64_e32 v[84:85], v[100:101]
.LBB6_296:                              ;   in Loop: Header=BB6_268 Depth=4
	s_or_b32 exec_lo, exec_lo, s43
	s_and_saveexec_b32 s10, s1
	s_cbranch_execz .LBB6_315
; %bb.297:                              ;   in Loop: Header=BB6_268 Depth=4
	s_and_saveexec_b32 s43, s2
	s_delay_alu instid0(SALU_CYCLE_1)
	s_xor_b32 s43, exec_lo, s43
	s_cbranch_execz .LBB6_312
; %bb.298:                              ;   in Loop: Header=BB6_268 Depth=4
	s_and_saveexec_b32 s44, s5
	s_cbranch_execz .LBB6_311
; %bb.299:                              ;   in Loop: Header=BB6_268 Depth=4
	s_mov_b32 s46, exec_lo
	s_mov_b32 s45, exec_lo
	v_mbcnt_lo_u32_b32 v9, s46, 0
	global_wb scope:SCOPE_DEV
	s_wait_storecnt 0x0
	s_wait_loadcnt_dscnt 0x0
	global_inv scope:SCOPE_DEV
	v_cmpx_eq_u32_e32 0, v9
	s_cbranch_execz .LBB6_301
; %bb.300:                              ;   in Loop: Header=BB6_268 Depth=4
	s_bcnt1_i32_b32 s46, s46
	s_delay_alu instid0(SALU_CYCLE_1)
	v_mov_b32_e32 v34, s46
	s_wait_loadcnt 0x0
	ds_add_u64 v0, v[34:35]
	s_trap 2
.LBB6_301:                              ;   in Loop: Header=BB6_268 Depth=4
	s_or_b32 exec_lo, exec_lo, s45
	s_trap 2
	ds_load_b64 v[100:101], v0
	s_wait_dscnt 0x0
	v_add_nc_u64_e32 v[10:11], v[10:11], v[36:37]
	s_mov_b32 s45, exec_lo
	s_delay_alu instid0(VALU_DEP_1)
	v_cmpx_lt_u64_e64 v[100:101], v[10:11]
	s_cbranch_execz .LBB6_310
; %bb.302:                              ;   in Loop: Header=BB6_268 Depth=4
	s_mov_b32 s46, 0
	s_mov_b32 s57, 0
                                        ; implicit-def: $sgpr47
                                        ; implicit-def: $sgpr56
	s_branch .LBB6_304
.LBB6_303:                              ;   in Loop: Header=BB6_304 Depth=5
	s_or_b32 exec_lo, exec_lo, s59
	s_delay_alu instid0(SALU_CYCLE_1) | instskip(NEXT) | instid1(SALU_CYCLE_1)
	s_and_b32 s58, exec_lo, s60
	s_or_b32 s46, s58, s46
	s_and_not1_b32 s47, s47, exec_lo
	s_and_b32 s58, s56, exec_lo
	s_delay_alu instid0(SALU_CYCLE_1)
	s_or_b32 s47, s47, s58
	s_and_not1_b32 exec_lo, exec_lo, s46
	s_cbranch_execz .LBB6_308
.LBB6_304:                              ;   Parent Loop BB6_53 Depth=1
                                        ;     Parent Loop BB6_89 Depth=2
                                        ;       Parent Loop BB6_265 Depth=3
                                        ;         Parent Loop BB6_268 Depth=4
                                        ; =>        This Inner Loop Header: Depth=5
	s_add_co_i32 s57, s57, 1
	s_delay_alu instid0(SALU_CYCLE_1) | instskip(SKIP_1) | instid1(SALU_CYCLE_1)
	s_cmp_lg_u32 s57, 0x2710
	s_cselect_b32 s58, -1, 0
	s_and_b32 vcc_lo, exec_lo, s58
	s_cbranch_vccz .LBB6_306
; %bb.305:                              ;   in Loop: Header=BB6_304 Depth=5
	s_mov_b32 s60, -1
	s_or_b32 s56, s56, exec_lo
	s_and_saveexec_b32 s59, s58
	s_cbranch_execz .LBB6_303
	s_branch .LBB6_307
.LBB6_306:                              ;   in Loop: Header=BB6_304 Depth=5
	s_trap 2
	ds_load_b64 v[100:101], v0
	s_and_not1_b32 s58, s58, exec_lo
	s_mov_b32 s57, 0
	s_wait_loadcnt_dscnt 0x0
	flat_load_b32 v9, v[100:101] scope:SCOPE_SYS
	s_wait_loadcnt_dscnt 0x0
	global_inv scope:SCOPE_SYS
	v_cmp_eq_u32_e32 vcc_lo, 0, v9
	s_and_b32 s59, vcc_lo, exec_lo
	s_delay_alu instid0(SALU_CYCLE_1)
	s_or_b32 s58, s58, s59
	s_mov_b32 s60, -1
	s_or_b32 s56, s56, exec_lo
	s_and_saveexec_b32 s59, s58
	s_cbranch_execz .LBB6_303
.LBB6_307:                              ;   in Loop: Header=BB6_304 Depth=5
	s_sleep 1
	s_trap 2
	ds_load_b64 v[100:101], v0
	s_wait_dscnt 0x0
	s_and_not1_b32 s56, s56, exec_lo
	v_cmp_ge_u64_e32 vcc_lo, v[100:101], v[10:11]
	s_or_not1_b32 s60, vcc_lo, exec_lo
	s_branch .LBB6_303
.LBB6_308:                              ;   in Loop: Header=BB6_268 Depth=4
	s_or_b32 exec_lo, exec_lo, s46
	s_and_saveexec_b32 s46, s47
	s_delay_alu instid0(SALU_CYCLE_1)
	s_xor_b32 s46, exec_lo, s46
	s_cbranch_execz .LBB6_310
; %bb.309:                              ;   in Loop: Header=BB6_268 Depth=4
	ds_store_b32 v0, v57
	s_trap 2
.LBB6_310:                              ;   in Loop: Header=BB6_268 Depth=4
	s_or_b32 exec_lo, exec_lo, s45
	;;#ASMSTART
	s_wakeup
	;;#ASMEND
.LBB6_311:                              ;   in Loop: Header=BB6_268 Depth=4
	s_or_b32 exec_lo, exec_lo, s44
.LBB6_312:                              ;   in Loop: Header=BB6_268 Depth=4
	s_and_not1_saveexec_b32 s43, s43
	s_cbranch_execz .LBB6_314
; %bb.313:                              ;   in Loop: Header=BB6_268 Depth=4
	global_wb scope:SCOPE_DEV
	s_wait_storecnt 0x0
	s_wait_loadcnt_dscnt 0x0
	global_inv scope:SCOPE_DEV
	s_barrier_signal -1
	s_barrier_wait -1
.LBB6_314:                              ;   in Loop: Header=BB6_268 Depth=4
	s_or_b32 exec_lo, exec_lo, s43
.LBB6_315:                              ;   in Loop: Header=BB6_268 Depth=4
	s_delay_alu instid0(SALU_CYCLE_1) | instskip(SKIP_3) | instid1(VALU_DEP_1)
	s_or_b32 exec_lo, exec_lo, s10
	s_trap 2
	ds_load_b32 v9, v0
	v_and_b32_e32 v34, 0x4000, v82
	v_cmp_ne_u32_e32 vcc_lo, 0, v34
	s_and_b32 s43, s22, vcc_lo
	s_delay_alu instid0(SALU_CYCLE_1)
	s_and_saveexec_b32 s10, s43
	s_cbranch_execz .LBB6_334
; %bb.316:                              ;   in Loop: Header=BB6_268 Depth=4
	s_and_saveexec_b32 s43, s2
	s_delay_alu instid0(SALU_CYCLE_1)
	s_xor_b32 s43, exec_lo, s43
	s_cbranch_execz .LBB6_331
; %bb.317:                              ;   in Loop: Header=BB6_268 Depth=4
	s_and_saveexec_b32 s44, s5
	s_cbranch_execz .LBB6_330
; %bb.318:                              ;   in Loop: Header=BB6_268 Depth=4
	s_mov_b32 s46, exec_lo
	s_mov_b32 s45, exec_lo
	v_mbcnt_lo_u32_b32 v34, s46, 0
	global_wb scope:SCOPE_DEV
	s_wait_storecnt 0x0
	s_wait_loadcnt_dscnt 0x0
	global_inv scope:SCOPE_DEV
	v_cmpx_eq_u32_e32 0, v34
	s_cbranch_execz .LBB6_320
; %bb.319:                              ;   in Loop: Header=BB6_268 Depth=4
	s_bcnt1_i32_b32 s46, s46
	s_delay_alu instid0(SALU_CYCLE_1)
	v_mov_b32_e32 v34, s46
	s_wait_loadcnt 0x0
	ds_add_u64 v0, v[34:35]
	s_trap 2
.LBB6_320:                              ;   in Loop: Header=BB6_268 Depth=4
	s_or_b32 exec_lo, exec_lo, s45
	s_trap 2
	ds_load_b64 v[100:101], v0
	s_wait_dscnt 0x0
	v_add_nc_u64_e32 v[10:11], v[10:11], v[36:37]
	s_mov_b32 s45, exec_lo
	s_delay_alu instid0(VALU_DEP_1)
	v_cmpx_lt_u64_e64 v[100:101], v[10:11]
	s_cbranch_execz .LBB6_329
; %bb.321:                              ;   in Loop: Header=BB6_268 Depth=4
	s_mov_b32 s46, 0
	s_mov_b32 s57, 0
                                        ; implicit-def: $sgpr47
                                        ; implicit-def: $sgpr56
	s_branch .LBB6_323
.LBB6_322:                              ;   in Loop: Header=BB6_323 Depth=5
	s_or_b32 exec_lo, exec_lo, s59
	s_delay_alu instid0(SALU_CYCLE_1) | instskip(NEXT) | instid1(SALU_CYCLE_1)
	s_and_b32 s58, exec_lo, s60
	s_or_b32 s46, s58, s46
	s_and_not1_b32 s47, s47, exec_lo
	s_and_b32 s58, s56, exec_lo
	s_delay_alu instid0(SALU_CYCLE_1)
	s_or_b32 s47, s47, s58
	s_and_not1_b32 exec_lo, exec_lo, s46
	s_cbranch_execz .LBB6_327
.LBB6_323:                              ;   Parent Loop BB6_53 Depth=1
                                        ;     Parent Loop BB6_89 Depth=2
                                        ;       Parent Loop BB6_265 Depth=3
                                        ;         Parent Loop BB6_268 Depth=4
                                        ; =>        This Inner Loop Header: Depth=5
	s_add_co_i32 s57, s57, 1
	s_delay_alu instid0(SALU_CYCLE_1) | instskip(SKIP_1) | instid1(SALU_CYCLE_1)
	s_cmp_lg_u32 s57, 0x2710
	s_cselect_b32 s58, -1, 0
	s_and_b32 vcc_lo, exec_lo, s58
	s_cbranch_vccz .LBB6_325
; %bb.324:                              ;   in Loop: Header=BB6_323 Depth=5
	s_mov_b32 s60, -1
	s_or_b32 s56, s56, exec_lo
	s_and_saveexec_b32 s59, s58
	s_cbranch_execz .LBB6_322
	s_branch .LBB6_326
.LBB6_325:                              ;   in Loop: Header=BB6_323 Depth=5
	s_trap 2
	ds_load_b64 v[100:101], v0
	s_and_not1_b32 s58, s58, exec_lo
	s_mov_b32 s57, 0
	s_wait_loadcnt_dscnt 0x0
	flat_load_b32 v34, v[100:101] scope:SCOPE_SYS
	s_wait_loadcnt_dscnt 0x0
	global_inv scope:SCOPE_SYS
	v_cmp_eq_u32_e32 vcc_lo, 0, v34
	s_and_b32 s59, vcc_lo, exec_lo
	s_delay_alu instid0(SALU_CYCLE_1)
	s_or_b32 s58, s58, s59
	s_mov_b32 s60, -1
	s_or_b32 s56, s56, exec_lo
	s_and_saveexec_b32 s59, s58
	s_cbranch_execz .LBB6_322
.LBB6_326:                              ;   in Loop: Header=BB6_323 Depth=5
	s_sleep 1
	s_trap 2
	ds_load_b64 v[100:101], v0
	s_wait_dscnt 0x0
	s_and_not1_b32 s56, s56, exec_lo
	v_cmp_ge_u64_e32 vcc_lo, v[100:101], v[10:11]
	s_or_not1_b32 s60, vcc_lo, exec_lo
	s_branch .LBB6_322
.LBB6_327:                              ;   in Loop: Header=BB6_268 Depth=4
	s_or_b32 exec_lo, exec_lo, s46
	s_and_saveexec_b32 s46, s47
	s_delay_alu instid0(SALU_CYCLE_1)
	s_xor_b32 s46, exec_lo, s46
	s_cbranch_execz .LBB6_329
; %bb.328:                              ;   in Loop: Header=BB6_268 Depth=4
	ds_store_b32 v0, v57
	s_trap 2
.LBB6_329:                              ;   in Loop: Header=BB6_268 Depth=4
	s_or_b32 exec_lo, exec_lo, s45
	;;#ASMSTART
	s_wakeup
	;;#ASMEND
.LBB6_330:                              ;   in Loop: Header=BB6_268 Depth=4
	s_or_b32 exec_lo, exec_lo, s44
.LBB6_331:                              ;   in Loop: Header=BB6_268 Depth=4
	s_and_not1_saveexec_b32 s43, s43
	s_cbranch_execz .LBB6_333
; %bb.332:                              ;   in Loop: Header=BB6_268 Depth=4
	global_wb scope:SCOPE_DEV
	s_wait_storecnt 0x0
	s_wait_loadcnt_dscnt 0x0
	global_inv scope:SCOPE_DEV
	s_barrier_signal -1
	s_barrier_wait -1
.LBB6_333:                              ;   in Loop: Header=BB6_268 Depth=4
	s_or_b32 exec_lo, exec_lo, s43
.LBB6_334:                              ;   in Loop: Header=BB6_268 Depth=4
	s_delay_alu instid0(SALU_CYCLE_1)
	s_or_b32 exec_lo, exec_lo, s10
	s_trap 2
	ds_load_b64 v[100:101], v0
	s_wait_dscnt 0x0
	v_cmp_eq_u64_e32 vcc_lo, 0, v[100:101]
	s_cbranch_vccnz .LBB6_342
; %bb.335:                              ;   in Loop: Header=BB6_268 Depth=4
	s_trap 2
	ds_load_b64 v[102:103], v0
	s_wait_dscnt 0x0
	v_cmp_eq_u64_e32 vcc_lo, 0, v[102:103]
	s_cbranch_vccnz .LBB6_342
; %bb.336:                              ;   in Loop: Header=BB6_268 Depth=4
	s_mov_b32 s10, -1
	s_and_saveexec_b32 s43, s7
	s_cbranch_execz .LBB6_338
; %bb.337:                              ;   in Loop: Header=BB6_268 Depth=4
	ds_load_b32 v34, v0 offset:720
	s_wait_dscnt 0x0
	v_and_b32_e32 v34, 15, v34
	s_delay_alu instid0(VALU_DEP_1)
	v_cmp_eq_u32_e32 vcc_lo, 0, v34
	s_or_not1_b32 s10, vcc_lo, exec_lo
.LBB6_338:                              ;   in Loop: Header=BB6_268 Depth=4
	s_or_b32 exec_lo, exec_lo, s43
	s_and_saveexec_b32 s43, s7
	s_cbranch_execz .LBB6_340
; %bb.339:                              ;   in Loop: Header=BB6_268 Depth=4
	ds_load_b32 v34, v0 offset:784
	s_wait_dscnt 0x0
	v_and_b32_e32 v34, 15, v34
	s_delay_alu instid0(VALU_DEP_1) | instskip(SKIP_3) | instid1(SALU_CYCLE_1)
	v_cmp_eq_u32_e32 vcc_lo, 0, v34
	s_and_b32 s44, s10, vcc_lo
	s_and_not1_b32 s10, s10, exec_lo
	s_and_b32 s44, s44, exec_lo
	s_or_b32 s10, s10, s44
.LBB6_340:                              ;   in Loop: Header=BB6_268 Depth=4
	s_or_b32 exec_lo, exec_lo, s43
	v_cmp_eq_u32_e32 vcc_lo, 0, v9
	s_xor_b32 s10, s10, -1
	v_mov_b32_e32 v112, v68
	v_cndmask_b32_e64 v34, 0, 1, s10
	s_mov_b32 s44, -1
	v_dual_cndmask_b32 v9, 0, v8, vcc_lo :: v_dual_mov_b32 v115, v0
	s_delay_alu instid0(VALU_DEP_2) | instskip(NEXT) | instid1(VALU_DEP_2)
	v_cmp_ne_u32_e32 vcc_lo, 0, v34
	v_dual_mov_b32 v34, 0 :: v_dual_mov_b32 v114, v9
	s_cbranch_vccz .LBB6_343
; %bb.341:                              ;   in Loop: Header=BB6_268 Depth=4
	s_and_saveexec_b32 s10, s44
	s_cbranch_execnz .LBB6_356
	s_branch .LBB6_364
.LBB6_342:                              ;   in Loop: Header=BB6_268 Depth=4
	s_mov_b32 s10, 0
	s_and_saveexec_b32 s43, s1
	s_cbranch_execnz .LBB6_365
	s_branch .LBB6_383
.LBB6_343:                              ;   in Loop: Header=BB6_268 Depth=4
	v_ashrrev_i32_e32 v34, 31, v9
	s_mov_b32 s10, exec_lo
	s_delay_alu instid0(VALU_DEP_1) | instskip(NEXT) | instid1(VALU_DEP_1)
	v_lshrrev_b32_e32 v34, 20, v34
	v_add_nc_u32_e32 v34, v9, v34
	s_delay_alu instid0(VALU_DEP_1) | instskip(NEXT) | instid1(VALU_DEP_1)
	v_ashrrev_i32_e32 v34, 12, v34
	v_sub_nc_u32_e32 v40, v34, v68
	s_delay_alu instid0(VALU_DEP_1)
	v_cmpx_lt_i32_e32 0, v40
	s_cbranch_execz .LBB6_347
; %bb.344:                              ;   in Loop: Header=BB6_268 Depth=4
	v_mov_b64_e32 v[112:113], v[102:103]
	v_mov_b64_e32 v[114:115], v[100:101]
	s_mov_b32 s43, 0
.LBB6_345:                              ;   Parent Loop BB6_53 Depth=1
                                        ;     Parent Loop BB6_89 Depth=2
                                        ;       Parent Loop BB6_265 Depth=3
                                        ;         Parent Loop BB6_268 Depth=4
                                        ; =>        This Inner Loop Header: Depth=5
	s_delay_alu instid0(VALU_DEP_1)
	v_add_nc_u64_e32 v[46:47], v[70:71], v[114:115]
	v_sub_nc_u32_e32 v40, v40, v36
	v_add_nc_u64_e32 v[114:115], v[114:115], v[50:51]
	s_clause 0x7
	global_load_b128 v[42:45], v[46:47], off th:TH_LOAD_NT
	global_load_b128 v[60:63], v[46:47], off offset:512 th:TH_LOAD_NT
	global_load_b128 v[72:75], v[46:47], off offset:1024 th:TH_LOAD_NT
	;; [unrolled: 1-line block ×7, first 2 shown]
	s_wait_xcnt 0x0
	v_add_nc_u64_e32 v[46:47], v[70:71], v[112:113]
	v_add_nc_u64_e32 v[112:113], v[112:113], v[50:51]
	v_cmp_gt_i32_e32 vcc_lo, 1, v40
	s_wait_loadcnt 0x7
	global_store_b128 v[46:47], v[42:45], off th:TH_STORE_NT
	s_wait_loadcnt 0x6
	global_store_b128 v[46:47], v[60:63], off offset:512 th:TH_STORE_NT
	s_wait_loadcnt 0x5
	global_store_b128 v[46:47], v[72:75], off offset:1024 th:TH_STORE_NT
	s_wait_loadcnt 0x4
	global_store_b128 v[46:47], v[76:79], off offset:1536 th:TH_STORE_NT
	s_wait_loadcnt 0x3
	global_store_b128 v[46:47], v[88:91], off offset:2048 th:TH_STORE_NT
	s_wait_loadcnt 0x2
	global_store_b128 v[46:47], v[92:95], off offset:2560 th:TH_STORE_NT
	s_wait_loadcnt 0x1
	global_store_b128 v[46:47], v[104:107], off offset:3072 th:TH_STORE_NT
	s_wait_loadcnt 0x0
	global_store_b128 v[46:47], v[108:111], off offset:3584 th:TH_STORE_NT
	s_or_b32 s43, vcc_lo, s43
	s_wait_xcnt 0x0
	s_and_not1_b32 exec_lo, exec_lo, s43
	s_cbranch_execnz .LBB6_345
; %bb.346:                              ;   in Loop: Header=BB6_268 Depth=4
	s_or_b32 exec_lo, exec_lo, s43
.LBB6_347:                              ;   in Loop: Header=BB6_268 Depth=4
	s_delay_alu instid0(SALU_CYCLE_1) | instskip(SKIP_3) | instid1(VALU_DEP_1)
	s_or_b32 exec_lo, exec_lo, s10
	v_dual_mov_b32 v34, 0 :: v_dual_lshlrev_b32 v119, 12, v34
	s_mov_b32 s44, 0
	s_mov_b32 s43, exec_lo
                                        ; implicit-def: $vgpr114
                                        ; implicit-def: $vgpr115
                                        ; implicit-def: $vgpr112
	v_cmpx_ne_u32_e64 v9, v119
	s_cbranch_execz .LBB6_355
; %bb.348:                              ;   in Loop: Header=BB6_268 Depth=4
	v_dual_lshlrev_b32 v34, 5, v40 :: v_dual_sub_nc_u32 v113, v9, v119
	s_mov_b32 s44, exec_lo
	s_delay_alu instid0(VALU_DEP_1) | instskip(NEXT) | instid1(VALU_DEP_1)
	v_dual_sub_nc_u32 v34, v58, v34 :: v_dual_ashrrev_i32 v114, 31, v113
	v_ashrrev_i32_e32 v112, 31, v34
	s_delay_alu instid0(VALU_DEP_1) | instskip(NEXT) | instid1(VALU_DEP_1)
	v_dual_lshrrev_b32 v114, 23, v114 :: v_dual_lshrrev_b32 v112, 27, v112
	v_add_nc_u32_e32 v112, v34, v112
	s_delay_alu instid0(VALU_DEP_1) | instskip(NEXT) | instid1(VALU_DEP_1)
	v_and_b32_e32 v115, 0xffffffe0, v112
	v_dual_add_nc_u32 v114, v113, v114 :: v_dual_sub_nc_u32 v41, v34, v115
	s_delay_alu instid0(VALU_DEP_1) | instskip(SKIP_1) | instid1(VALU_DEP_2)
	v_and_b32_e32 v40, 0xfffffe00, v114
	v_dual_ashrrev_i32 v115, 5, v112 :: v_dual_ashrrev_i32 v114, 9, v114
	v_dual_lshlrev_b32 v34, 4, v41 :: v_dual_sub_nc_u32 v42, v113, v40
	s_delay_alu instid0(VALU_DEP_1) | instskip(NEXT) | instid1(VALU_DEP_2)
	v_lshl_add_u32 v112, v115, 9, v34
	v_cmp_lt_i32_e32 vcc_lo, 15, v42
	s_delay_alu instid0(VALU_DEP_4) | instskip(NEXT) | instid1(VALU_DEP_1)
	v_add_co_ci_u32_e64 v114, null, 0, v114, vcc_lo
	v_dual_sub_nc_u32 v34, v113, v112 :: v_dual_sub_nc_u32 v43, v114, v115
	s_delay_alu instid0(VALU_DEP_1)
	v_cmpx_lt_i32_e32 15, v34
	s_cbranch_execz .LBB6_352
; %bb.349:                              ;   in Loop: Header=BB6_268 Depth=4
	v_add_nc_u32_e32 v112, v112, v119
	s_mov_b32 s45, 0
	s_delay_alu instid0(VALU_DEP_1)
	v_ashrrev_i32_e32 v113, 31, v112
.LBB6_350:                              ;   Parent Loop BB6_53 Depth=1
                                        ;     Parent Loop BB6_89 Depth=2
                                        ;       Parent Loop BB6_265 Depth=3
                                        ;         Parent Loop BB6_268 Depth=4
                                        ; =>        This Inner Loop Header: Depth=5
	s_delay_alu instid0(VALU_DEP_1) | instskip(SKIP_2) | instid1(VALU_DEP_2)
	v_add_nc_u64_e32 v[114:115], v[100:101], v[112:113]
	v_sub_nc_u32_e32 v34, v34, v52
	v_sub_nc_u32_e32 v43, v43, v36
	v_cmp_gt_i32_e64 s10, 16, v34
	global_load_b128 v[44:47], v[114:115], off th:TH_LOAD_NT
	s_wait_xcnt 0x0
	v_add_nc_u64_e32 v[114:115], v[102:103], v[112:113]
	v_add_nc_u64_e32 v[112:113], v[112:113], v[52:53]
	s_or_b32 s45, s10, s45
	s_wait_loadcnt 0x0
	global_store_b128 v[114:115], v[44:47], off th:TH_STORE_NT
	s_wait_xcnt 0x0
	s_and_not1_b32 exec_lo, exec_lo, s45
	s_cbranch_execnz .LBB6_350
; %bb.351:                              ;   in Loop: Header=BB6_268 Depth=4
	s_or_b32 exec_lo, exec_lo, s45
.LBB6_352:                              ;   in Loop: Header=BB6_268 Depth=4
	s_delay_alu instid0(SALU_CYCLE_1) | instskip(SKIP_3) | instid1(VALU_DEP_1)
	s_or_b32 exec_lo, exec_lo, s44
	v_dual_mov_b32 v34, 0 :: v_dual_bitop2_b32 v113, 15, v9 bitop3:0x40
	s_mov_b32 s44, 0
	s_mov_b32 s45, exec_lo
                                        ; implicit-def: $vgpr115
                                        ; implicit-def: $vgpr112
	v_cndmask_b32_e32 v114, v42, v113, vcc_lo
	s_delay_alu instid0(VALU_DEP_1)
	v_cmpx_ne_u32_e32 0, v114
	s_cbranch_execz .LBB6_354
; %bb.353:                              ;   in Loop: Header=BB6_268 Depth=4
	v_cmp_lt_i32_e64 s10, 0, v43
	s_mov_b32 s44, exec_lo
	v_dual_sub_nc_u32 v112, v42, v113 :: v_dual_cndmask_b32 v34, 0, v36, s10
	s_delay_alu instid0(VALU_DEP_1) | instskip(NEXT) | instid1(VALU_DEP_1)
	v_dual_cndmask_b32 v112, 0, v112, vcc_lo :: v_dual_sub_nc_u32 v34, v34, v43
	v_lshl_add_u32 v115, v34, 5, v41
	s_delay_alu instid0(VALU_DEP_1) | instskip(NEXT) | instid1(VALU_DEP_1)
	v_ashrrev_i32_e32 v34, 31, v115
	v_lshrrev_b32_e32 v34, 27, v34
	s_delay_alu instid0(VALU_DEP_1) | instskip(SKIP_1) | instid1(VALU_DEP_2)
	v_add_nc_u32_e32 v113, v115, v34
	v_add3_u32 v34, v40, v119, v112
	v_ashrrev_i32_e32 v112, 5, v113
.LBB6_354:                              ;   in Loop: Header=BB6_268 Depth=4
	s_or_b32 exec_lo, exec_lo, s45
	s_delay_alu instid0(SALU_CYCLE_1)
	s_and_b32 s44, s44, exec_lo
.LBB6_355:                              ;   in Loop: Header=BB6_268 Depth=4
	s_or_b32 exec_lo, exec_lo, s43
	s_and_saveexec_b32 s10, s44
	s_cbranch_execz .LBB6_364
.LBB6_356:                              ;   in Loop: Header=BB6_268 Depth=4
	v_ashrrev_i32_e32 v113, 31, v114
	s_mov_b32 s43, exec_lo
	s_delay_alu instid0(VALU_DEP_1) | instskip(NEXT) | instid1(VALU_DEP_1)
	v_lshrrev_b32_e32 v113, 22, v113
	v_add_nc_u32_e32 v113, v114, v113
	s_delay_alu instid0(VALU_DEP_1) | instskip(NEXT) | instid1(VALU_DEP_1)
	v_dual_ashrrev_i32 v41, 10, v113 :: v_dual_ashrrev_i32 v113, 31, v115
	v_dual_sub_nc_u32 v119, v41, v112 :: v_dual_lshrrev_b32 v40, 27, v113
	s_delay_alu instid0(VALU_DEP_1)
	v_cmpx_lt_i32_e32 0, v119
	s_cbranch_execz .LBB6_360
; %bb.357:                              ;   in Loop: Header=BB6_268 Depth=4
	s_delay_alu instid0(VALU_DEP_2) | instskip(SKIP_2) | instid1(VALU_DEP_2)
	v_add_nc_u32_e32 v113, v115, v40
	s_mov_b32 s44, 0
	v_lshlrev_b32_e32 v112, 10, v112
	v_and_b32_e32 v113, 0xffffffe0, v113
	s_delay_alu instid0(VALU_DEP_1) | instskip(NEXT) | instid1(VALU_DEP_1)
	v_sub_nc_u32_e32 v113, v115, v113
	v_add3_u32 v112, v34, v113, v112
	s_delay_alu instid0(VALU_DEP_1)
	v_ashrrev_i32_e32 v113, 31, v112
.LBB6_358:                              ;   Parent Loop BB6_53 Depth=1
                                        ;     Parent Loop BB6_89 Depth=2
                                        ;       Parent Loop BB6_265 Depth=3
                                        ;         Parent Loop BB6_268 Depth=4
                                        ; =>        This Inner Loop Header: Depth=5
	s_delay_alu instid0(VALU_DEP_1)
	v_add_nc_u64_e32 v[42:43], v[112:113], v[100:101]
	v_sub_nc_u32_e32 v119, v119, v36
	v_add_nc_u64_e32 v[100:101], v[100:101], v[54:55]
	s_clause 0x1f
	flat_load_u8 v44, v[42:43] th:TH_LOAD_NT
	flat_load_u8 v45, v[42:43] offset:32 th:TH_LOAD_NT
	flat_load_u8 v46, v[42:43] offset:64 th:TH_LOAD_NT
	;; [unrolled: 1-line block ×31, first 2 shown]
	s_wait_xcnt 0x0
	v_add_nc_u64_e32 v[42:43], v[112:113], v[102:103]
	v_add_nc_u64_e32 v[102:103], v[102:103], v[54:55]
	v_cmp_gt_i32_e32 vcc_lo, 1, v119
	s_wait_loadcnt_dscnt 0x1f1f
	flat_store_b8 v[42:43], v44 th:TH_STORE_NT
	s_wait_loadcnt_dscnt 0x1e1f
	flat_store_b8 v[42:43], v45 offset:32 th:TH_STORE_NT
	s_wait_loadcnt_dscnt 0x1d1f
	flat_store_b8 v[42:43], v46 offset:64 th:TH_STORE_NT
	;; [unrolled: 2-line block ×31, first 2 shown]
	s_or_b32 s44, vcc_lo, s44
	s_wait_xcnt 0x0
	s_and_not1_b32 exec_lo, exec_lo, s44
	s_cbranch_execnz .LBB6_358
; %bb.359:                              ;   in Loop: Header=BB6_268 Depth=4
	s_or_b32 exec_lo, exec_lo, s44
.LBB6_360:                              ;   in Loop: Header=BB6_268 Depth=4
	s_delay_alu instid0(SALU_CYCLE_1) | instskip(SKIP_1) | instid1(VALU_DEP_1)
	s_or_b32 exec_lo, exec_lo, s43
	v_lshlrev_b32_e32 v100, 10, v41
	v_cmp_ne_u32_e32 vcc_lo, v114, v100
	s_and_b32 exec_lo, exec_lo, vcc_lo
	s_cbranch_execz .LBB6_364
; %bb.361:                              ;   in Loop: Header=BB6_268 Depth=4
	v_dual_add_nc_u32 v101, v115, v40 :: v_dual_lshlrev_b32 v102, 5, v119
	s_delay_alu instid0(VALU_DEP_1) | instskip(NEXT) | instid1(VALU_DEP_1)
	v_and_b32_e32 v101, 0xffffffe0, v101
	v_sub_nc_u32_e32 v101, v115, v101
	s_delay_alu instid0(VALU_DEP_1) | instskip(NEXT) | instid1(VALU_DEP_1)
	v_sub_nc_u32_e32 v101, v101, v102
	v_add_nc_u32_e32 v102, v100, v101
	s_delay_alu instid0(VALU_DEP_1) | instskip(NEXT) | instid1(VALU_DEP_1)
	v_sub_nc_u32_e32 v112, v114, v102
	v_cmp_lt_i32_e32 vcc_lo, 0, v112
	s_and_b32 exec_lo, exec_lo, vcc_lo
	s_cbranch_execz .LBB6_364
; %bb.362:                              ;   in Loop: Header=BB6_268 Depth=4
	s_trap 2
	ds_load_b64 v[100:101], v0
	v_add_nc_u32_e32 v102, v102, v34
	s_mov_b32 s43, 0
	s_delay_alu instid0(VALU_DEP_1)
	v_ashrrev_i32_e32 v103, 31, v102
.LBB6_363:                              ;   Parent Loop BB6_53 Depth=1
                                        ;     Parent Loop BB6_89 Depth=2
                                        ;       Parent Loop BB6_265 Depth=3
                                        ;         Parent Loop BB6_268 Depth=4
                                        ; =>        This Inner Loop Header: Depth=5
	s_wait_dscnt 0x0
	s_delay_alu instid0(VALU_DEP_1) | instskip(SKIP_2) | instid1(VALU_DEP_2)
	v_add_nc_u64_e32 v[114:115], v[100:101], v[102:103]
	v_sub_nc_u32_e32 v112, v112, v38
	v_add_nc_u64_e32 v[102:103], v[102:103], v[38:39]
	v_cmp_gt_i32_e32 vcc_lo, 1, v112
	flat_load_u8 v34, v[114:115] th:TH_LOAD_NT
	s_or_b32 s43, vcc_lo, s43
	s_wait_loadcnt_dscnt 0x0
	flat_store_b8 v[114:115], v34 th:TH_STORE_NT
	s_wait_xcnt 0x0
	s_and_not1_b32 exec_lo, exec_lo, s43
	s_cbranch_execnz .LBB6_363
.LBB6_364:                              ;   in Loop: Header=BB6_268 Depth=4
	s_or_b32 exec_lo, exec_lo, s10
	v_cmp_lt_i32_e64 s10, 0, v9
	s_and_saveexec_b32 s43, s1
	s_cbranch_execz .LBB6_383
.LBB6_365:                              ;   in Loop: Header=BB6_268 Depth=4
	s_and_saveexec_b32 s44, s2
	s_delay_alu instid0(SALU_CYCLE_1)
	s_xor_b32 s44, exec_lo, s44
	s_cbranch_execz .LBB6_380
; %bb.366:                              ;   in Loop: Header=BB6_268 Depth=4
	s_and_saveexec_b32 s45, s5
	s_cbranch_execz .LBB6_379
; %bb.367:                              ;   in Loop: Header=BB6_268 Depth=4
	s_mov_b32 s47, exec_lo
	s_mov_b32 s46, exec_lo
	v_mbcnt_lo_u32_b32 v9, s47, 0
	global_wb scope:SCOPE_DEV
	s_wait_storecnt 0x0
	s_wait_loadcnt_dscnt 0x0
	global_inv scope:SCOPE_DEV
	v_cmpx_eq_u32_e32 0, v9
	s_cbranch_execz .LBB6_369
; %bb.368:                              ;   in Loop: Header=BB6_268 Depth=4
	s_bcnt1_i32_b32 s47, s47
	s_delay_alu instid0(SALU_CYCLE_1)
	v_mov_b32_e32 v34, s47
	s_wait_loadcnt 0x0
	ds_add_u64 v0, v[34:35]
	s_trap 2
.LBB6_369:                              ;   in Loop: Header=BB6_268 Depth=4
	s_or_b32 exec_lo, exec_lo, s46
	s_trap 2
	ds_load_b64 v[100:101], v0
	s_wait_dscnt 0x0
	v_add_nc_u64_e32 v[10:11], v[10:11], v[36:37]
	s_mov_b32 s46, exec_lo
	s_delay_alu instid0(VALU_DEP_1)
	v_cmpx_lt_u64_e64 v[100:101], v[10:11]
	s_cbranch_execz .LBB6_378
; %bb.370:                              ;   in Loop: Header=BB6_268 Depth=4
	s_mov_b32 s47, 0
	s_mov_b32 s58, 0
                                        ; implicit-def: $sgpr56
                                        ; implicit-def: $sgpr57
	s_branch .LBB6_372
.LBB6_371:                              ;   in Loop: Header=BB6_372 Depth=5
	s_or_b32 exec_lo, exec_lo, s60
	s_delay_alu instid0(SALU_CYCLE_1) | instskip(NEXT) | instid1(SALU_CYCLE_1)
	s_and_b32 s59, exec_lo, s61
	s_or_b32 s47, s59, s47
	s_and_not1_b32 s56, s56, exec_lo
	s_and_b32 s59, s57, exec_lo
	s_delay_alu instid0(SALU_CYCLE_1)
	s_or_b32 s56, s56, s59
	s_and_not1_b32 exec_lo, exec_lo, s47
	s_cbranch_execz .LBB6_376
.LBB6_372:                              ;   Parent Loop BB6_53 Depth=1
                                        ;     Parent Loop BB6_89 Depth=2
                                        ;       Parent Loop BB6_265 Depth=3
                                        ;         Parent Loop BB6_268 Depth=4
                                        ; =>        This Inner Loop Header: Depth=5
	s_add_co_i32 s58, s58, 1
	s_delay_alu instid0(SALU_CYCLE_1) | instskip(SKIP_1) | instid1(SALU_CYCLE_1)
	s_cmp_lg_u32 s58, 0x2710
	s_cselect_b32 s59, -1, 0
	s_and_b32 vcc_lo, exec_lo, s59
	s_cbranch_vccz .LBB6_374
; %bb.373:                              ;   in Loop: Header=BB6_372 Depth=5
	s_mov_b32 s61, -1
	s_or_b32 s57, s57, exec_lo
	s_and_saveexec_b32 s60, s59
	s_cbranch_execz .LBB6_371
	s_branch .LBB6_375
.LBB6_374:                              ;   in Loop: Header=BB6_372 Depth=5
	s_trap 2
	ds_load_b64 v[100:101], v0
	s_and_not1_b32 s59, s59, exec_lo
	s_mov_b32 s58, 0
	s_wait_loadcnt_dscnt 0x0
	flat_load_b32 v9, v[100:101] scope:SCOPE_SYS
	s_wait_loadcnt_dscnt 0x0
	global_inv scope:SCOPE_SYS
	v_cmp_eq_u32_e32 vcc_lo, 0, v9
	s_and_b32 s60, vcc_lo, exec_lo
	s_delay_alu instid0(SALU_CYCLE_1)
	s_or_b32 s59, s59, s60
	s_mov_b32 s61, -1
	s_or_b32 s57, s57, exec_lo
	s_and_saveexec_b32 s60, s59
	s_cbranch_execz .LBB6_371
.LBB6_375:                              ;   in Loop: Header=BB6_372 Depth=5
	s_sleep 1
	s_trap 2
	ds_load_b64 v[100:101], v0
	s_wait_dscnt 0x0
	s_and_not1_b32 s57, s57, exec_lo
	v_cmp_ge_u64_e32 vcc_lo, v[100:101], v[10:11]
	s_or_not1_b32 s61, vcc_lo, exec_lo
	s_branch .LBB6_371
.LBB6_376:                              ;   in Loop: Header=BB6_268 Depth=4
	s_or_b32 exec_lo, exec_lo, s47
	s_and_saveexec_b32 s47, s56
	s_delay_alu instid0(SALU_CYCLE_1)
	s_xor_b32 s47, exec_lo, s47
	s_cbranch_execz .LBB6_378
; %bb.377:                              ;   in Loop: Header=BB6_268 Depth=4
	ds_store_b32 v0, v57
	s_trap 2
.LBB6_378:                              ;   in Loop: Header=BB6_268 Depth=4
	s_or_b32 exec_lo, exec_lo, s46
	;;#ASMSTART
	s_wakeup
	;;#ASMEND
.LBB6_379:                              ;   in Loop: Header=BB6_268 Depth=4
	s_or_b32 exec_lo, exec_lo, s45
.LBB6_380:                              ;   in Loop: Header=BB6_268 Depth=4
	s_and_not1_saveexec_b32 s44, s44
	s_cbranch_execz .LBB6_382
; %bb.381:                              ;   in Loop: Header=BB6_268 Depth=4
	global_wb scope:SCOPE_DEV
	s_wait_storecnt 0x0
	s_wait_loadcnt_dscnt 0x0
	global_inv scope:SCOPE_DEV
	s_barrier_signal -1
	s_barrier_wait -1
.LBB6_382:                              ;   in Loop: Header=BB6_268 Depth=4
	s_or_b32 exec_lo, exec_lo, s44
.LBB6_383:                              ;   in Loop: Header=BB6_268 Depth=4
	s_delay_alu instid0(SALU_CYCLE_1) | instskip(SKIP_1) | instid1(VALU_DEP_1)
	s_or_b32 exec_lo, exec_lo, s43
	v_and_b32_e32 v9, 16, v82
	v_cmp_ne_u32_e32 vcc_lo, 0, v9
	s_and_b32 s43, vcc_lo, s10
	s_delay_alu instid0(SALU_CYCLE_1)
	s_and_saveexec_b32 s10, s43
	s_cbranch_execz .LBB6_385
; %bb.384:                              ;   in Loop: Header=BB6_268 Depth=4
	global_wb scope:SCOPE_SYS
	s_wait_storecnt 0x0
	s_wait_loadcnt_dscnt 0x0
	global_inv scope:SCOPE_SYS
.LBB6_385:                              ;   in Loop: Header=BB6_268 Depth=4
	s_or_b32 exec_lo, exec_lo, s10
	v_cmp_ne_u32_e32 vcc_lo, 0, v9
	s_xor_b32 s10, s3, -1
	s_delay_alu instid0(SALU_CYCLE_1) | instskip(NEXT) | instid1(SALU_CYCLE_1)
	s_and_b32 s43, vcc_lo, s10
	s_and_saveexec_b32 s10, s43
	s_cbranch_execz .LBB6_387
; %bb.386:                              ;   in Loop: Header=BB6_268 Depth=4
	global_wb scope:SCOPE_SYS
	s_wait_storecnt 0x0
	s_wait_loadcnt_dscnt 0x0
	flat_store_b32 v[24:25], v57 scope:SCOPE_SYS
.LBB6_387:                              ;   in Loop: Header=BB6_268 Depth=4
	s_wait_xcnt 0x0
	s_or_b32 exec_lo, exec_lo, s10
	v_and_b32_e32 v9, 48, v82
	s_mov_b32 s10, exec_lo
	s_delay_alu instid0(VALU_DEP_1)
	v_cmpx_ne_u32_e32 0, v9
	s_cbranch_execz .LBB6_267
; %bb.388:                              ;   in Loop: Header=BB6_268 Depth=4
	v_add_nc_u64_e32 v[84:85], 2, v[84:85]
	global_wb scope:SCOPE_SYS
	s_wait_storecnt 0x0
	s_wait_loadcnt_dscnt 0x0
	flat_store_b64 v[18:19], v[84:85] scope:SCOPE_SYS
	s_branch .LBB6_267
.LBB6_389:                              ;   in Loop: Header=BB6_265 Depth=3
	s_or_b32 exec_lo, exec_lo, s40
.LBB6_390:                              ;   in Loop: Header=BB6_265 Depth=3
	s_delay_alu instid0(SALU_CYCLE_1) | instskip(NEXT) | instid1(SALU_CYCLE_1)
	s_or_b32 exec_lo, exec_lo, s29
	s_mov_b32 s29, exec_lo
	v_cmpx_gt_i32_e32 2, v9
	s_cbranch_execz .LBB6_264
; %bb.391:                              ;   in Loop: Header=BB6_265 Depth=3
	v_cmp_eq_u32_e64 s41, 0, v9
	s_mov_b32 s40, 0
	s_branch .LBB6_393
.LBB6_392:                              ;   in Loop: Header=BB6_393 Depth=4
	s_wait_xcnt 0x0
	s_or_b32 exec_lo, exec_lo, s10
	v_add_nc_u32_e32 v118, v8, v118
	s_mov_b32 s41, 0
	s_and_not1_b32 exec_lo, exec_lo, s40
	s_cbranch_execz .LBB6_263
.LBB6_393:                              ;   Parent Loop BB6_53 Depth=1
                                        ;     Parent Loop BB6_89 Depth=2
                                        ;       Parent Loop BB6_265 Depth=3
                                        ; =>      This Loop Header: Depth=4
                                        ;           Child Loop BB6_399 Depth 5
                                        ;           Child Loop BB6_427 Depth 5
	s_delay_alu instid0(VALU_DEP_1) | instskip(SKIP_2) | instid1(VALU_DEP_2)
	v_sub_nc_u32_e32 v9, v116, v118
	v_and_b32_e32 v34, 12, v82
	s_mov_b32 s42, exec_lo
	v_min_i32_e32 v8, v8, v9
	s_delay_alu instid0(VALU_DEP_2)
	v_cmpx_ne_u32_e32 0, v34
	s_cbranch_execz .LBB6_419
; %bb.394:                              ;   in Loop: Header=BB6_393 Depth=4
	v_and_b32_e32 v34, 8, v82
	v_add_nc_u64_e32 v[100:101], 2, v[84:85]
	s_mov_b32 s43, exec_lo
	s_wait_loadcnt 0x0
	s_delay_alu instid0(VALU_DEP_2) | instskip(NEXT) | instid1(VALU_DEP_1)
	v_add_nc_u64_e32 v[102:103], v[26:27], v[34:35]
	v_cmpx_lt_u64_e64 v[102:103], v[100:101]
	s_cbranch_execz .LBB6_406
; %bb.395:                              ;   in Loop: Header=BB6_393 Depth=4
	v_and_b32_e32 v9, 64, v82
	s_mov_b32 s44, 0
	s_mov_b32 s56, 0
                                        ; implicit-def: $sgpr45
                                        ; implicit-def: $sgpr46
                                        ; implicit-def: $sgpr47
	s_delay_alu instid0(VALU_DEP_1)
	v_cmp_eq_u32_e32 vcc_lo, 0, v9
	s_branch .LBB6_399
.LBB6_396:                              ;   in Loop: Header=BB6_399 Depth=5
	s_wait_loadcnt_dscnt 0x0
	v_add_nc_u64_e32 v[102:103], v[26:27], v[34:35]
	s_or_b32 s59, s59, exec_lo
	s_delay_alu instid0(VALU_DEP_1)
	v_cmp_ge_u64_e64 s10, v[102:103], v[100:101]
	s_or_not1_b32 s58, s10, exec_lo
.LBB6_397:                              ;   in Loop: Header=BB6_399 Depth=5
	s_or_b32 exec_lo, exec_lo, s61
	s_delay_alu instid0(SALU_CYCLE_1)
	s_and_not1_b32 s10, s47, exec_lo
	s_and_b32 s47, s59, exec_lo
	s_and_not1_b32 s46, s46, exec_lo
	s_and_b32 s58, s58, exec_lo
	s_or_b32 s47, s10, s47
	s_or_b32 s46, s46, s58
.LBB6_398:                              ;   in Loop: Header=BB6_399 Depth=5
	s_or_b32 exec_lo, exec_lo, s57
	s_delay_alu instid0(SALU_CYCLE_1) | instskip(NEXT) | instid1(SALU_CYCLE_1)
	s_and_b32 s10, exec_lo, s46
	s_or_b32 s44, s10, s44
	s_and_not1_b32 s10, s45, exec_lo
	s_and_b32 s45, s47, exec_lo
	s_delay_alu instid0(SALU_CYCLE_1)
	s_or_b32 s45, s10, s45
	s_and_not1_b32 exec_lo, exec_lo, s44
	s_cbranch_execz .LBB6_403
.LBB6_399:                              ;   Parent Loop BB6_53 Depth=1
                                        ;     Parent Loop BB6_89 Depth=2
                                        ;       Parent Loop BB6_265 Depth=3
                                        ;         Parent Loop BB6_393 Depth=4
                                        ; =>        This Inner Loop Header: Depth=5
	s_sleep 1
	s_wait_loadcnt_dscnt 0x0
	flat_load_b64 v[26:27], v[18:19] scope:SCOPE_SYS
	s_or_b32 s47, s47, exec_lo
	s_or_b32 s46, s46, exec_lo
                                        ; implicit-def: $vgpr9
	s_wait_xcnt 0x0
	s_and_saveexec_b32 s57, vcc_lo
	s_cbranch_execz .LBB6_398
; %bb.400:                              ;   in Loop: Header=BB6_399 Depth=5
	s_cmp_lt_i32 s56, 0x270f
	s_mov_b32 s58, -1
	s_cselect_b32 s60, -1, 0
	s_cmp_gt_i32 s56, 0x270e
	s_cbranch_scc0 .LBB6_402
; %bb.401:                              ;   in Loop: Header=BB6_399 Depth=5
	s_trap 2
	ds_load_b64 v[102:103], v0
	s_and_not1_b32 s56, s60, exec_lo
	s_mov_b32 s59, 0
	s_wait_storecnt 0x0
	s_wait_loadcnt_dscnt 0x0
	flat_load_b32 v9, v[102:103] scope:SCOPE_SYS
	s_wait_loadcnt_dscnt 0x0
	global_inv scope:SCOPE_SYS
	v_cmp_eq_u32_e64 s10, 0, v9
	s_and_b32 s10, s10, exec_lo
	s_delay_alu instid0(SALU_CYCLE_1)
	s_or_b32 s60, s56, s10
	s_mov_b32 s56, 0
	s_and_saveexec_b32 s61, s60
	s_cbranch_execz .LBB6_397
	s_branch .LBB6_396
.LBB6_402:                              ;   in Loop: Header=BB6_399 Depth=5
	s_add_co_i32 s56, s56, 1
	s_mov_b32 s59, -1
                                        ; implicit-def: $vgpr9
	s_and_saveexec_b32 s61, s60
	s_cbranch_execz .LBB6_397
	s_branch .LBB6_396
.LBB6_403:                              ;   in Loop: Header=BB6_393 Depth=4
	s_or_b32 exec_lo, exec_lo, s44
	s_xor_b32 s10, s45, -1
	s_delay_alu instid0(SALU_CYCLE_1) | instskip(NEXT) | instid1(SALU_CYCLE_1)
	s_and_saveexec_b32 s44, s10
	s_xor_b32 s10, exec_lo, s44
	s_cbranch_execz .LBB6_405
; %bb.404:                              ;   in Loop: Header=BB6_393 Depth=4
	v_or_b32_e32 v82, 64, v82
	s_wait_storecnt 0x0
	s_wait_loadcnt_dscnt 0x0
	ds_store_b32 v0, v9
	s_trap 2
.LBB6_405:                              ;   in Loop: Header=BB6_393 Depth=4
	s_or_b32 exec_lo, exec_lo, s10
.LBB6_406:                              ;   in Loop: Header=BB6_393 Depth=4
	s_delay_alu instid0(SALU_CYCLE_1) | instskip(SKIP_4) | instid1(VALU_DEP_2)
	s_or_b32 exec_lo, exec_lo, s43
	v_and_b32_e32 v9, 0x108, v82
	v_and_b32_e32 v84, 7, v84
	s_mov_b32 s10, exec_lo
	;;#ASMSTART
	s_wakeup
	;;#ASMEND
	v_cmpx_ne_u32_e32 0x108, v9
	s_xor_b32 s10, exec_lo, s10
; %bb.407:                              ;   in Loop: Header=BB6_393 Depth=4
	v_mov_b32_e32 v85, v35
; %bb.408:                              ;   in Loop: Header=BB6_393 Depth=4
	s_and_not1_saveexec_b32 s10, s10
	s_cbranch_execz .LBB6_410
; %bb.409:                              ;   in Loop: Header=BB6_393 Depth=4
	v_mad_nc_u64_u32 v[102:103], v84, 24, v[4:5]
	v_dual_ashrrev_i32 v9, 31, v8 :: v_dual_mov_b32 v85, v35
	flat_store_b64 v[102:103], v[8:9] offset:8
.LBB6_410:                              ;   in Loop: Header=BB6_393 Depth=4
	s_wait_xcnt 0x0
	s_or_b32 exec_lo, exec_lo, s10
	v_and_b32_e32 v9, 0x100, v82
	s_mov_b32 s10, -1
	s_mov_b32 s43, exec_lo
                                        ; implicit-def: $vgpr102_vgpr103
	s_delay_alu instid0(VALU_DEP_1)
	v_cmpx_ne_u32_e32 0, v9
	s_cbranch_execz .LBB6_414
; %bb.411:                              ;   in Loop: Header=BB6_393 Depth=4
	v_mad_nc_u64_u32 v[112:113], v84, 24, v[4:5]
	s_mov_b32 s44, exec_lo
                                        ; implicit-def: $vgpr102_vgpr103
	s_delay_alu instid0(VALU_DEP_1)
	v_mad_u32 v113, v85, 24, v113
	flat_load_b32 v9, v[112:113]
	s_wait_loadcnt_dscnt 0x0
	v_cmp_ne_u32_e32 vcc_lo, 1, v9
	s_wait_xcnt 0x0
	v_cmpx_eq_u32_e32 1, v9
	s_cbranch_execz .LBB6_413
; %bb.412:                              ;   in Loop: Header=BB6_393 Depth=4
	flat_load_b32 v102, v[112:113] offset:4 scope:SCOPE_SYS
	s_wait_loadcnt_dscnt 0x0
	v_ashrrev_i32_e32 v103, 31, v102
.LBB6_413:                              ;   in Loop: Header=BB6_393 Depth=4
	s_wait_xcnt 0x0
	s_or_b32 exec_lo, exec_lo, s44
	s_delay_alu instid0(SALU_CYCLE_1)
	s_or_not1_b32 s10, vcc_lo, exec_lo
.LBB6_414:                              ;   in Loop: Header=BB6_393 Depth=4
	s_or_b32 exec_lo, exec_lo, s43
	s_and_saveexec_b32 s43, s10
; %bb.415:                              ;   in Loop: Header=BB6_393 Depth=4
	v_mul_u64_e32 v[102:103], v[84:85], v[20:21]
; %bb.416:                              ;   in Loop: Header=BB6_393 Depth=4
	s_or_b32 exec_lo, exec_lo, s43
	v_cmp_eq_u32_e32 vcc_lo, 0, v34
	s_delay_alu instid0(VALU_DEP_2) | instskip(SKIP_3) | instid1(VALU_DEP_1)
	v_add_nc_u64_e32 v[84:85], v[22:23], v[102:103]
	v_and_b32_e32 v34, 0x2000, v82
	s_mov_b32 s10, exec_lo
	v_cndmask_b32_e32 v9, 0xc8, v59, vcc_lo
	v_add_nc_u32_e32 v9, v0, v9
	ds_store_b64 v9, v[84:85] offset:584
	v_cmpx_ne_u32_e32 0, v34
	s_cbranch_execz .LBB6_418
; %bb.417:                              ;   in Loop: Header=BB6_393 Depth=4
	ds_load_b64 v[84:85], v0 offset:872
	s_wait_dscnt 0x0
	v_add_nc_u64_e32 v[84:85], 1, v[84:85]
	ds_store_b64 v0, v[84:85] offset:872
.LBB6_418:                              ;   in Loop: Header=BB6_393 Depth=4
	s_or_b32 exec_lo, exec_lo, s10
	v_mov_b64_e32 v[84:85], v[100:101]
.LBB6_419:                              ;   in Loop: Header=BB6_393 Depth=4
	s_or_b32 exec_lo, exec_lo, s42
	s_xor_b32 s10, s41, -1
	s_delay_alu instid0(SALU_CYCLE_1) | instskip(NEXT) | instid1(SALU_CYCLE_1)
	s_and_b32 s10, exec_lo, s10
	s_or_b32 s40, s10, s40
	s_and_saveexec_b32 s10, s1
	s_cbranch_execz .LBB6_438
; %bb.420:                              ;   in Loop: Header=BB6_393 Depth=4
	s_and_saveexec_b32 s41, s2
	s_delay_alu instid0(SALU_CYCLE_1)
	s_xor_b32 s41, exec_lo, s41
	s_cbranch_execz .LBB6_435
; %bb.421:                              ;   in Loop: Header=BB6_393 Depth=4
	s_and_saveexec_b32 s42, s5
	s_cbranch_execz .LBB6_434
; %bb.422:                              ;   in Loop: Header=BB6_393 Depth=4
	s_mov_b32 s44, exec_lo
	s_mov_b32 s43, exec_lo
	v_mbcnt_lo_u32_b32 v9, s44, 0
	global_wb scope:SCOPE_DEV
	s_wait_storecnt 0x0
	s_wait_loadcnt_dscnt 0x0
	global_inv scope:SCOPE_DEV
	v_cmpx_eq_u32_e32 0, v9
	s_cbranch_execz .LBB6_424
; %bb.423:                              ;   in Loop: Header=BB6_393 Depth=4
	s_bcnt1_i32_b32 s44, s44
	s_delay_alu instid0(SALU_CYCLE_1)
	v_mov_b32_e32 v34, s44
	s_wait_loadcnt 0x0
	ds_add_u64 v0, v[34:35]
	s_trap 2
.LBB6_424:                              ;   in Loop: Header=BB6_393 Depth=4
	s_or_b32 exec_lo, exec_lo, s43
	s_trap 2
	ds_load_b64 v[100:101], v0
	s_wait_dscnt 0x0
	v_add_nc_u64_e32 v[10:11], v[10:11], v[36:37]
	s_mov_b32 s43, exec_lo
	s_delay_alu instid0(VALU_DEP_1)
	v_cmpx_lt_u64_e64 v[100:101], v[10:11]
	s_cbranch_execz .LBB6_433
; %bb.425:                              ;   in Loop: Header=BB6_393 Depth=4
	s_mov_b32 s44, 0
	s_mov_b32 s47, 0
                                        ; implicit-def: $sgpr45
                                        ; implicit-def: $sgpr46
	s_branch .LBB6_427
.LBB6_426:                              ;   in Loop: Header=BB6_427 Depth=5
	s_or_b32 exec_lo, exec_lo, s57
	s_delay_alu instid0(SALU_CYCLE_1) | instskip(NEXT) | instid1(SALU_CYCLE_1)
	s_and_b32 s56, exec_lo, s58
	s_or_b32 s44, s56, s44
	s_and_not1_b32 s45, s45, exec_lo
	s_and_b32 s56, s46, exec_lo
	s_delay_alu instid0(SALU_CYCLE_1)
	s_or_b32 s45, s45, s56
	s_and_not1_b32 exec_lo, exec_lo, s44
	s_cbranch_execz .LBB6_431
.LBB6_427:                              ;   Parent Loop BB6_53 Depth=1
                                        ;     Parent Loop BB6_89 Depth=2
                                        ;       Parent Loop BB6_265 Depth=3
                                        ;         Parent Loop BB6_393 Depth=4
                                        ; =>        This Inner Loop Header: Depth=5
	s_add_co_i32 s47, s47, 1
	s_delay_alu instid0(SALU_CYCLE_1) | instskip(SKIP_1) | instid1(SALU_CYCLE_1)
	s_cmp_lg_u32 s47, 0x2710
	s_cselect_b32 s56, -1, 0
	s_and_b32 vcc_lo, exec_lo, s56
	s_cbranch_vccz .LBB6_429
; %bb.428:                              ;   in Loop: Header=BB6_427 Depth=5
	s_mov_b32 s58, -1
	s_or_b32 s46, s46, exec_lo
	s_and_saveexec_b32 s57, s56
	s_cbranch_execz .LBB6_426
	s_branch .LBB6_430
.LBB6_429:                              ;   in Loop: Header=BB6_427 Depth=5
	s_trap 2
	ds_load_b64 v[100:101], v0
	s_and_not1_b32 s56, s56, exec_lo
	s_mov_b32 s47, 0
	s_wait_loadcnt_dscnt 0x0
	flat_load_b32 v9, v[100:101] scope:SCOPE_SYS
	s_wait_loadcnt_dscnt 0x0
	global_inv scope:SCOPE_SYS
	v_cmp_eq_u32_e32 vcc_lo, 0, v9
	s_and_b32 s57, vcc_lo, exec_lo
	s_delay_alu instid0(SALU_CYCLE_1)
	s_or_b32 s56, s56, s57
	s_mov_b32 s58, -1
	s_or_b32 s46, s46, exec_lo
	s_and_saveexec_b32 s57, s56
	s_cbranch_execz .LBB6_426
.LBB6_430:                              ;   in Loop: Header=BB6_427 Depth=5
	s_sleep 1
	s_trap 2
	ds_load_b64 v[100:101], v0
	s_wait_dscnt 0x0
	s_and_not1_b32 s46, s46, exec_lo
	v_cmp_ge_u64_e32 vcc_lo, v[100:101], v[10:11]
	s_or_not1_b32 s58, vcc_lo, exec_lo
	s_branch .LBB6_426
.LBB6_431:                              ;   in Loop: Header=BB6_393 Depth=4
	s_or_b32 exec_lo, exec_lo, s44
	s_and_saveexec_b32 s44, s45
	s_delay_alu instid0(SALU_CYCLE_1)
	s_xor_b32 s44, exec_lo, s44
	s_cbranch_execz .LBB6_433
; %bb.432:                              ;   in Loop: Header=BB6_393 Depth=4
	ds_store_b32 v0, v57
	s_trap 2
.LBB6_433:                              ;   in Loop: Header=BB6_393 Depth=4
	s_or_b32 exec_lo, exec_lo, s43
	;;#ASMSTART
	s_wakeup
	;;#ASMEND
.LBB6_434:                              ;   in Loop: Header=BB6_393 Depth=4
	s_or_b32 exec_lo, exec_lo, s42
.LBB6_435:                              ;   in Loop: Header=BB6_393 Depth=4
	s_and_not1_saveexec_b32 s41, s41
	s_cbranch_execz .LBB6_437
; %bb.436:                              ;   in Loop: Header=BB6_393 Depth=4
	global_wb scope:SCOPE_DEV
	s_wait_storecnt 0x0
	s_wait_loadcnt_dscnt 0x0
	global_inv scope:SCOPE_DEV
	s_barrier_signal -1
	s_barrier_wait -1
.LBB6_437:                              ;   in Loop: Header=BB6_393 Depth=4
	s_or_b32 exec_lo, exec_lo, s41
.LBB6_438:                              ;   in Loop: Header=BB6_393 Depth=4
	s_delay_alu instid0(SALU_CYCLE_1)
	s_or_b32 exec_lo, exec_lo, s10
	s_trap 2
	ds_load_b32 v9, v0
	v_cmp_lt_i32_e32 vcc_lo, 0, v8
	s_wait_dscnt 0x0
	v_readfirstlane_b32 s10, v9
	v_and_b32_e32 v9, 16, v82
	s_cmp_eq_u32 s10, 0
	s_delay_alu instid0(VALU_DEP_1) | instskip(SKIP_1) | instid1(SALU_CYCLE_1)
	v_cmp_ne_u32_e64 s10, 0, v9
	s_cselect_b32 s41, -1, 0
	s_and_b32 s41, vcc_lo, s41
	s_delay_alu instid0(SALU_CYCLE_1) | instskip(NEXT) | instid1(SALU_CYCLE_1)
	s_and_b32 s41, s10, s41
	s_and_saveexec_b32 s10, s41
	s_cbranch_execz .LBB6_440
; %bb.439:                              ;   in Loop: Header=BB6_393 Depth=4
	global_wb scope:SCOPE_SYS
	s_wait_loadcnt 0x0
	s_wait_storecnt 0x0
	global_inv scope:SCOPE_SYS
.LBB6_440:                              ;   in Loop: Header=BB6_393 Depth=4
	s_or_b32 exec_lo, exec_lo, s10
	v_cmp_ne_u32_e32 vcc_lo, 0, v9
	s_xor_b32 s10, s3, -1
	s_delay_alu instid0(SALU_CYCLE_1) | instskip(NEXT) | instid1(SALU_CYCLE_1)
	s_and_b32 s41, vcc_lo, s10
	s_and_saveexec_b32 s10, s41
	s_cbranch_execz .LBB6_442
; %bb.441:                              ;   in Loop: Header=BB6_393 Depth=4
	global_wb scope:SCOPE_SYS
	s_wait_loadcnt 0x0
	s_wait_storecnt 0x0
	flat_store_b32 v[24:25], v57 scope:SCOPE_SYS
.LBB6_442:                              ;   in Loop: Header=BB6_393 Depth=4
	s_wait_xcnt 0x0
	s_or_b32 exec_lo, exec_lo, s10
	v_and_b32_e32 v9, 48, v82
	s_mov_b32 s10, exec_lo
	s_delay_alu instid0(VALU_DEP_1)
	v_cmpx_ne_u32_e32 0, v9
	s_cbranch_execz .LBB6_392
; %bb.443:                              ;   in Loop: Header=BB6_393 Depth=4
	v_add_nc_u64_e32 v[84:85], 2, v[84:85]
	global_wb scope:SCOPE_SYS
	s_wait_storecnt 0x0
	s_wait_loadcnt_dscnt 0x0
	flat_store_b64 v[18:19], v[84:85] scope:SCOPE_SYS
	s_branch .LBB6_392
.LBB6_444:                              ;   in Loop: Header=BB6_89 Depth=2
	v_add_nc_u64_e32 v[100:101], v[6:7], v[98:99]
	s_delay_alu instid0(VALU_DEP_1) | instskip(SKIP_1) | instid1(VALU_DEP_2)
	v_dual_mov_b32 v9, 0 :: v_dual_max_i32 v118, 0, v100
	v_cmp_lt_i32_e32 vcc_lo, 0, v100
	v_add_nc_u32_e32 v8, 31, v118
	s_and_b32 s10, s11, vcc_lo
	s_delay_alu instid0(VALU_DEP_1) | instskip(NEXT) | instid1(VALU_DEP_1)
	v_lshrrev_b32_e32 v8, 1, v8
	v_and_b32_e32 v8, 0x3ffffff0, v8
	s_delay_alu instid0(VALU_DEP_1)
	v_dual_mov_b32 v8, 0 :: v_dual_max_i32 v119, s21, v8
	s_and_saveexec_b32 s27, s10
	s_cbranch_execz .LBB6_563
; %bb.445:                              ;   in Loop: Header=BB6_89 Depth=2
	v_mov_b32_e32 v8, 0
	s_mov_b32 s40, 1
	s_mov_b32 s29, -1
	s_mov_b32 s28, 0
	s_branch .LBB6_447
.LBB6_446:                              ;   in Loop: Header=BB6_447 Depth=3
	s_wait_xcnt 0x0
	s_or_b32 exec_lo, exec_lo, s10
	v_dual_mov_b32 v9, s40 :: v_dual_add_nc_u32 v8, v119, v8
	s_xor_b32 s10, s29, -1
	s_mov_b32 s29, 0
	s_mov_b32 s40, 2
	s_delay_alu instid0(VALU_DEP_1) | instskip(SKIP_1) | instid1(SALU_CYCLE_1)
	v_cmp_ge_i32_e32 vcc_lo, v8, v118
	s_or_b32 s10, s10, vcc_lo
	s_and_b32 s10, exec_lo, s10
	s_delay_alu instid0(SALU_CYCLE_1) | instskip(NEXT) | instid1(SALU_CYCLE_1)
	s_or_b32 s28, s10, s28
	s_and_not1_b32 exec_lo, exec_lo, s28
	s_cbranch_execz .LBB6_562
.LBB6_447:                              ;   Parent Loop BB6_53 Depth=1
                                        ;     Parent Loop BB6_89 Depth=2
                                        ; =>    This Loop Header: Depth=3
                                        ;         Child Loop BB6_455 Depth 4
                                        ;         Child Loop BB6_479 Depth 4
	;; [unrolled: 1-line block ×8, first 2 shown]
	s_and_saveexec_b32 s10, s0
	s_cbranch_execz .LBB6_449
; %bb.448:                              ;   in Loop: Header=BB6_447 Depth=3
	s_trap 2
	ds_load_b128 v[112:115], v0
	s_wait_dscnt 0x0
	v_add_nc_u64_e32 v[102:103], v[114:115], v[100:101]
	v_cmp_ne_u64_e32 vcc_lo, 0, v[114:115]
	v_ashrrev_i32_e32 v9, 31, v8
	v_add_nc_u64_e32 v[112:113], v[112:113], v[100:101]
	s_delay_alu instid0(VALU_DEP_2) | instskip(NEXT) | instid1(VALU_DEP_1)
	v_add_nc_u64_e32 v[102:103], v[102:103], v[8:9]
	v_cndmask_b32_e32 v103, 0, v103, vcc_lo
	s_delay_alu instid0(VALU_DEP_3) | instskip(NEXT) | instid1(VALU_DEP_3)
	v_add_nc_u64_e32 v[112:113], v[112:113], v[8:9]
	v_cndmask_b32_e32 v102, 0, v102, vcc_lo
	ds_store_b64 v0, v[112:113]
	ds_store_b64 v0, v[102:103]
.LBB6_449:                              ;   in Loop: Header=BB6_447 Depth=3
	s_or_b32 exec_lo, exec_lo, s10
	v_and_b32_e32 v9, 4, v82
	s_mov_b32 s41, exec_lo
	s_delay_alu instid0(VALU_DEP_1)
	v_cmpx_ne_u32_e32 0, v9
	s_cbranch_execz .LBB6_471
; %bb.450:                              ;   in Loop: Header=BB6_447 Depth=3
	v_add_nc_u64_e32 v[102:103], 2, v[84:85]
	s_mov_b32 s42, exec_lo
	s_wait_loadcnt 0x0
	s_delay_alu instid0(VALU_DEP_1)
	v_cmpx_lt_u64_e64 v[26:27], v[102:103]
	s_cbranch_execz .LBB6_462
; %bb.451:                              ;   in Loop: Header=BB6_447 Depth=3
	v_and_b32_e32 v9, 64, v82
	s_mov_b32 s43, 0
	s_mov_b32 s47, 0
                                        ; implicit-def: $sgpr44
                                        ; implicit-def: $sgpr45
                                        ; implicit-def: $sgpr46
	s_delay_alu instid0(VALU_DEP_1)
	v_cmp_eq_u32_e32 vcc_lo, 0, v9
	s_branch .LBB6_455
.LBB6_452:                              ;   in Loop: Header=BB6_455 Depth=4
	s_wait_loadcnt_dscnt 0x0
	v_cmp_ge_u64_e64 s10, v[26:27], v[102:103]
	s_or_b32 s58, s58, exec_lo
	s_or_not1_b32 s57, s10, exec_lo
.LBB6_453:                              ;   in Loop: Header=BB6_455 Depth=4
	s_or_b32 exec_lo, exec_lo, s60
	s_delay_alu instid0(SALU_CYCLE_1)
	s_and_not1_b32 s10, s46, exec_lo
	s_and_b32 s46, s58, exec_lo
	s_and_not1_b32 s45, s45, exec_lo
	s_and_b32 s57, s57, exec_lo
	s_or_b32 s46, s10, s46
	s_or_b32 s45, s45, s57
.LBB6_454:                              ;   in Loop: Header=BB6_455 Depth=4
	s_or_b32 exec_lo, exec_lo, s56
	s_delay_alu instid0(SALU_CYCLE_1) | instskip(NEXT) | instid1(SALU_CYCLE_1)
	s_and_b32 s10, exec_lo, s45
	s_or_b32 s43, s10, s43
	s_and_not1_b32 s10, s44, exec_lo
	s_and_b32 s44, s46, exec_lo
	s_delay_alu instid0(SALU_CYCLE_1)
	s_or_b32 s44, s10, s44
	s_and_not1_b32 exec_lo, exec_lo, s43
	s_cbranch_execz .LBB6_459
.LBB6_455:                              ;   Parent Loop BB6_53 Depth=1
                                        ;     Parent Loop BB6_89 Depth=2
                                        ;       Parent Loop BB6_447 Depth=3
                                        ; =>      This Inner Loop Header: Depth=4
	s_sleep 1
	s_wait_loadcnt_dscnt 0x0
	flat_load_b64 v[26:27], v[18:19] scope:SCOPE_SYS
	s_or_b32 s46, s46, exec_lo
	s_or_b32 s45, s45, exec_lo
                                        ; implicit-def: $vgpr9
	s_wait_xcnt 0x0
	s_and_saveexec_b32 s56, vcc_lo
	s_cbranch_execz .LBB6_454
; %bb.456:                              ;   in Loop: Header=BB6_455 Depth=4
	s_cmp_lt_i32 s47, 0x270f
	s_mov_b32 s57, -1
	s_cselect_b32 s59, -1, 0
	s_cmp_gt_i32 s47, 0x270e
	s_cbranch_scc0 .LBB6_458
; %bb.457:                              ;   in Loop: Header=BB6_455 Depth=4
	s_trap 2
	ds_load_b64 v[112:113], v0
	s_and_not1_b32 s47, s59, exec_lo
	s_mov_b32 s58, 0
	s_wait_storecnt 0x0
	s_wait_loadcnt_dscnt 0x0
	flat_load_b32 v9, v[112:113] scope:SCOPE_SYS
	s_wait_loadcnt_dscnt 0x0
	global_inv scope:SCOPE_SYS
	v_cmp_eq_u32_e64 s10, 0, v9
	s_and_b32 s10, s10, exec_lo
	s_delay_alu instid0(SALU_CYCLE_1)
	s_or_b32 s59, s47, s10
	s_mov_b32 s47, 0
	s_and_saveexec_b32 s60, s59
	s_cbranch_execz .LBB6_453
	s_branch .LBB6_452
.LBB6_458:                              ;   in Loop: Header=BB6_455 Depth=4
	s_add_co_i32 s47, s47, 1
	s_mov_b32 s58, -1
                                        ; implicit-def: $vgpr9
	s_and_saveexec_b32 s60, s59
	s_cbranch_execz .LBB6_453
	s_branch .LBB6_452
.LBB6_459:                              ;   in Loop: Header=BB6_447 Depth=3
	s_or_b32 exec_lo, exec_lo, s43
	s_xor_b32 s10, s44, -1
	s_delay_alu instid0(SALU_CYCLE_1) | instskip(NEXT) | instid1(SALU_CYCLE_1)
	s_and_saveexec_b32 s43, s10
	s_xor_b32 s10, exec_lo, s43
	s_cbranch_execz .LBB6_461
; %bb.460:                              ;   in Loop: Header=BB6_447 Depth=3
	v_or_b32_e32 v82, 64, v82
	s_wait_storecnt 0x0
	s_wait_loadcnt_dscnt 0x0
	ds_store_b32 v0, v9
	s_trap 2
.LBB6_461:                              ;   in Loop: Header=BB6_447 Depth=3
	s_or_b32 exec_lo, exec_lo, s10
.LBB6_462:                              ;   in Loop: Header=BB6_447 Depth=3
	s_delay_alu instid0(SALU_CYCLE_1)
	s_or_b32 exec_lo, exec_lo, s42
	v_and_b32_e32 v9, 0x100, v82
	v_and_b32_e32 v34, 7, v84
	s_mov_b32 s10, -1
	s_mov_b32 s42, exec_lo
	;;#ASMSTART
	s_wakeup
	;;#ASMEND
                                        ; implicit-def: $vgpr84_vgpr85
	v_cmpx_ne_u32_e32 0, v9
	s_cbranch_execz .LBB6_466
; %bb.463:                              ;   in Loop: Header=BB6_447 Depth=3
	v_mad_nc_u64_u32 v[112:113], v34, 24, v[4:5]
	s_mov_b32 s43, exec_lo
                                        ; implicit-def: $vgpr84_vgpr85
	flat_load_b32 v9, v[112:113]
	s_wait_loadcnt_dscnt 0x0
	v_cmp_ne_u32_e32 vcc_lo, 1, v9
	s_wait_xcnt 0x0
	v_cmpx_eq_u32_e32 1, v9
	s_cbranch_execz .LBB6_465
; %bb.464:                              ;   in Loop: Header=BB6_447 Depth=3
	flat_load_b32 v84, v[112:113] offset:4 scope:SCOPE_SYS
	s_wait_loadcnt_dscnt 0x0
	v_ashrrev_i32_e32 v85, 31, v84
.LBB6_465:                              ;   in Loop: Header=BB6_447 Depth=3
	s_wait_xcnt 0x0
	s_or_b32 exec_lo, exec_lo, s43
	s_delay_alu instid0(SALU_CYCLE_1)
	s_or_not1_b32 s10, vcc_lo, exec_lo
.LBB6_466:                              ;   in Loop: Header=BB6_447 Depth=3
	s_or_b32 exec_lo, exec_lo, s42
	s_and_saveexec_b32 s42, s10
; %bb.467:                              ;   in Loop: Header=BB6_447 Depth=3
	v_mul_u64_e32 v[84:85], v[34:35], v[20:21]
; %bb.468:                              ;   in Loop: Header=BB6_447 Depth=3
	s_or_b32 exec_lo, exec_lo, s42
	s_delay_alu instid0(VALU_DEP_1)
	v_add_nc_u64_e32 v[84:85], v[22:23], v[84:85]
	v_and_b32_e32 v9, 0x2000, v82
	s_mov_b32 s10, exec_lo
	ds_store_b64 v0, v[84:85] offset:720
	v_cmpx_ne_u32_e32 0, v9
	s_cbranch_execz .LBB6_470
; %bb.469:                              ;   in Loop: Header=BB6_447 Depth=3
	ds_load_b64 v[84:85], v0 offset:872
	s_wait_dscnt 0x0
	v_add_nc_u64_e32 v[84:85], 1, v[84:85]
	ds_store_b64 v0, v[84:85] offset:872
.LBB6_470:                              ;   in Loop: Header=BB6_447 Depth=3
	s_or_b32 exec_lo, exec_lo, s10
	v_mov_b64_e32 v[84:85], v[102:103]
.LBB6_471:                              ;   in Loop: Header=BB6_447 Depth=3
	s_or_b32 exec_lo, exec_lo, s41
	s_and_saveexec_b32 s10, s1
	s_cbranch_execz .LBB6_490
; %bb.472:                              ;   in Loop: Header=BB6_447 Depth=3
	s_and_saveexec_b32 s41, s2
	s_delay_alu instid0(SALU_CYCLE_1)
	s_xor_b32 s41, exec_lo, s41
	s_cbranch_execz .LBB6_487
; %bb.473:                              ;   in Loop: Header=BB6_447 Depth=3
	s_and_saveexec_b32 s42, s5
	s_cbranch_execz .LBB6_486
; %bb.474:                              ;   in Loop: Header=BB6_447 Depth=3
	s_mov_b32 s44, exec_lo
	s_mov_b32 s43, exec_lo
	v_mbcnt_lo_u32_b32 v9, s44, 0
	global_wb scope:SCOPE_DEV
	s_wait_storecnt 0x0
	s_wait_loadcnt_dscnt 0x0
	global_inv scope:SCOPE_DEV
	v_cmpx_eq_u32_e32 0, v9
	s_cbranch_execz .LBB6_476
; %bb.475:                              ;   in Loop: Header=BB6_447 Depth=3
	s_bcnt1_i32_b32 s44, s44
	s_delay_alu instid0(SALU_CYCLE_1)
	v_mov_b32_e32 v34, s44
	s_wait_loadcnt 0x0
	ds_add_u64 v0, v[34:35]
	s_trap 2
.LBB6_476:                              ;   in Loop: Header=BB6_447 Depth=3
	s_or_b32 exec_lo, exec_lo, s43
	s_trap 2
	ds_load_b64 v[102:103], v0
	s_wait_dscnt 0x0
	v_add_nc_u64_e32 v[10:11], v[10:11], v[36:37]
	s_mov_b32 s43, exec_lo
	s_delay_alu instid0(VALU_DEP_1)
	v_cmpx_lt_u64_e64 v[102:103], v[10:11]
	s_cbranch_execz .LBB6_485
; %bb.477:                              ;   in Loop: Header=BB6_447 Depth=3
	s_mov_b32 s44, 0
	s_mov_b32 s47, 0
                                        ; implicit-def: $sgpr45
                                        ; implicit-def: $sgpr46
	s_branch .LBB6_479
.LBB6_478:                              ;   in Loop: Header=BB6_479 Depth=4
	s_or_b32 exec_lo, exec_lo, s57
	s_delay_alu instid0(SALU_CYCLE_1) | instskip(NEXT) | instid1(SALU_CYCLE_1)
	s_and_b32 s56, exec_lo, s58
	s_or_b32 s44, s56, s44
	s_and_not1_b32 s45, s45, exec_lo
	s_and_b32 s56, s46, exec_lo
	s_delay_alu instid0(SALU_CYCLE_1)
	s_or_b32 s45, s45, s56
	s_and_not1_b32 exec_lo, exec_lo, s44
	s_cbranch_execz .LBB6_483
.LBB6_479:                              ;   Parent Loop BB6_53 Depth=1
                                        ;     Parent Loop BB6_89 Depth=2
                                        ;       Parent Loop BB6_447 Depth=3
                                        ; =>      This Inner Loop Header: Depth=4
	s_add_co_i32 s47, s47, 1
	s_delay_alu instid0(SALU_CYCLE_1) | instskip(SKIP_1) | instid1(SALU_CYCLE_1)
	s_cmp_lg_u32 s47, 0x2710
	s_cselect_b32 s56, -1, 0
	s_and_b32 vcc_lo, exec_lo, s56
	s_cbranch_vccz .LBB6_481
; %bb.480:                              ;   in Loop: Header=BB6_479 Depth=4
	s_mov_b32 s58, -1
	s_or_b32 s46, s46, exec_lo
	s_and_saveexec_b32 s57, s56
	s_cbranch_execz .LBB6_478
	s_branch .LBB6_482
.LBB6_481:                              ;   in Loop: Header=BB6_479 Depth=4
	s_trap 2
	ds_load_b64 v[102:103], v0
	s_and_not1_b32 s56, s56, exec_lo
	s_mov_b32 s47, 0
	s_wait_loadcnt_dscnt 0x0
	flat_load_b32 v9, v[102:103] scope:SCOPE_SYS
	s_wait_loadcnt_dscnt 0x0
	global_inv scope:SCOPE_SYS
	v_cmp_eq_u32_e32 vcc_lo, 0, v9
	s_and_b32 s57, vcc_lo, exec_lo
	s_delay_alu instid0(SALU_CYCLE_1)
	s_or_b32 s56, s56, s57
	s_mov_b32 s58, -1
	s_or_b32 s46, s46, exec_lo
	s_and_saveexec_b32 s57, s56
	s_cbranch_execz .LBB6_478
.LBB6_482:                              ;   in Loop: Header=BB6_479 Depth=4
	s_sleep 1
	s_trap 2
	ds_load_b64 v[102:103], v0
	s_wait_dscnt 0x0
	s_and_not1_b32 s46, s46, exec_lo
	v_cmp_ge_u64_e32 vcc_lo, v[102:103], v[10:11]
	s_or_not1_b32 s58, vcc_lo, exec_lo
	s_branch .LBB6_478
.LBB6_483:                              ;   in Loop: Header=BB6_447 Depth=3
	s_or_b32 exec_lo, exec_lo, s44
	s_and_saveexec_b32 s44, s45
	s_delay_alu instid0(SALU_CYCLE_1)
	s_xor_b32 s44, exec_lo, s44
	s_cbranch_execz .LBB6_485
; %bb.484:                              ;   in Loop: Header=BB6_447 Depth=3
	ds_store_b32 v0, v57
	s_trap 2
.LBB6_485:                              ;   in Loop: Header=BB6_447 Depth=3
	s_or_b32 exec_lo, exec_lo, s43
	;;#ASMSTART
	s_wakeup
	;;#ASMEND
.LBB6_486:                              ;   in Loop: Header=BB6_447 Depth=3
	s_or_b32 exec_lo, exec_lo, s42
.LBB6_487:                              ;   in Loop: Header=BB6_447 Depth=3
	s_and_not1_saveexec_b32 s41, s41
	s_cbranch_execz .LBB6_489
; %bb.488:                              ;   in Loop: Header=BB6_447 Depth=3
	global_wb scope:SCOPE_DEV
	s_wait_storecnt 0x0
	s_wait_loadcnt_dscnt 0x0
	global_inv scope:SCOPE_DEV
	s_barrier_signal -1
	s_barrier_wait -1
.LBB6_489:                              ;   in Loop: Header=BB6_447 Depth=3
	s_or_b32 exec_lo, exec_lo, s41
.LBB6_490:                              ;   in Loop: Header=BB6_447 Depth=3
	s_delay_alu instid0(SALU_CYCLE_1) | instskip(SKIP_3) | instid1(VALU_DEP_1)
	s_or_b32 exec_lo, exec_lo, s10
	s_trap 2
	ds_load_b32 v9, v0
	v_and_b32_e32 v34, 0x4000, v82
	v_cmp_ne_u32_e32 vcc_lo, 0, v34
	s_and_b32 s41, s22, vcc_lo
	s_delay_alu instid0(SALU_CYCLE_1)
	s_and_saveexec_b32 s10, s41
	s_cbranch_execz .LBB6_509
; %bb.491:                              ;   in Loop: Header=BB6_447 Depth=3
	s_and_saveexec_b32 s41, s2
	s_delay_alu instid0(SALU_CYCLE_1)
	s_xor_b32 s41, exec_lo, s41
	s_cbranch_execz .LBB6_506
; %bb.492:                              ;   in Loop: Header=BB6_447 Depth=3
	s_and_saveexec_b32 s42, s5
	s_cbranch_execz .LBB6_505
; %bb.493:                              ;   in Loop: Header=BB6_447 Depth=3
	s_mov_b32 s44, exec_lo
	s_mov_b32 s43, exec_lo
	v_mbcnt_lo_u32_b32 v34, s44, 0
	global_wb scope:SCOPE_DEV
	s_wait_storecnt 0x0
	s_wait_loadcnt_dscnt 0x0
	global_inv scope:SCOPE_DEV
	v_cmpx_eq_u32_e32 0, v34
	s_cbranch_execz .LBB6_495
; %bb.494:                              ;   in Loop: Header=BB6_447 Depth=3
	s_bcnt1_i32_b32 s44, s44
	s_delay_alu instid0(SALU_CYCLE_1)
	v_mov_b32_e32 v34, s44
	s_wait_loadcnt 0x0
	ds_add_u64 v0, v[34:35]
	s_trap 2
.LBB6_495:                              ;   in Loop: Header=BB6_447 Depth=3
	s_or_b32 exec_lo, exec_lo, s43
	s_trap 2
	ds_load_b64 v[102:103], v0
	s_wait_dscnt 0x0
	v_add_nc_u64_e32 v[10:11], v[10:11], v[36:37]
	s_mov_b32 s43, exec_lo
	s_delay_alu instid0(VALU_DEP_1)
	v_cmpx_lt_u64_e64 v[102:103], v[10:11]
	s_cbranch_execz .LBB6_504
; %bb.496:                              ;   in Loop: Header=BB6_447 Depth=3
	s_mov_b32 s44, 0
	s_mov_b32 s47, 0
                                        ; implicit-def: $sgpr45
                                        ; implicit-def: $sgpr46
	s_branch .LBB6_498
.LBB6_497:                              ;   in Loop: Header=BB6_498 Depth=4
	s_or_b32 exec_lo, exec_lo, s57
	s_delay_alu instid0(SALU_CYCLE_1) | instskip(NEXT) | instid1(SALU_CYCLE_1)
	s_and_b32 s56, exec_lo, s58
	s_or_b32 s44, s56, s44
	s_and_not1_b32 s45, s45, exec_lo
	s_and_b32 s56, s46, exec_lo
	s_delay_alu instid0(SALU_CYCLE_1)
	s_or_b32 s45, s45, s56
	s_and_not1_b32 exec_lo, exec_lo, s44
	s_cbranch_execz .LBB6_502
.LBB6_498:                              ;   Parent Loop BB6_53 Depth=1
                                        ;     Parent Loop BB6_89 Depth=2
                                        ;       Parent Loop BB6_447 Depth=3
                                        ; =>      This Inner Loop Header: Depth=4
	s_add_co_i32 s47, s47, 1
	s_delay_alu instid0(SALU_CYCLE_1) | instskip(SKIP_1) | instid1(SALU_CYCLE_1)
	s_cmp_lg_u32 s47, 0x2710
	s_cselect_b32 s56, -1, 0
	s_and_b32 vcc_lo, exec_lo, s56
	s_cbranch_vccz .LBB6_500
; %bb.499:                              ;   in Loop: Header=BB6_498 Depth=4
	s_mov_b32 s58, -1
	s_or_b32 s46, s46, exec_lo
	s_and_saveexec_b32 s57, s56
	s_cbranch_execz .LBB6_497
	s_branch .LBB6_501
.LBB6_500:                              ;   in Loop: Header=BB6_498 Depth=4
	s_trap 2
	ds_load_b64 v[102:103], v0
	s_and_not1_b32 s56, s56, exec_lo
	s_mov_b32 s47, 0
	s_wait_loadcnt_dscnt 0x0
	flat_load_b32 v34, v[102:103] scope:SCOPE_SYS
	s_wait_loadcnt_dscnt 0x0
	global_inv scope:SCOPE_SYS
	v_cmp_eq_u32_e32 vcc_lo, 0, v34
	s_and_b32 s57, vcc_lo, exec_lo
	s_delay_alu instid0(SALU_CYCLE_1)
	s_or_b32 s56, s56, s57
	s_mov_b32 s58, -1
	s_or_b32 s46, s46, exec_lo
	s_and_saveexec_b32 s57, s56
	s_cbranch_execz .LBB6_497
.LBB6_501:                              ;   in Loop: Header=BB6_498 Depth=4
	s_sleep 1
	s_trap 2
	ds_load_b64 v[102:103], v0
	s_wait_dscnt 0x0
	s_and_not1_b32 s46, s46, exec_lo
	v_cmp_ge_u64_e32 vcc_lo, v[102:103], v[10:11]
	s_or_not1_b32 s58, vcc_lo, exec_lo
	s_branch .LBB6_497
.LBB6_502:                              ;   in Loop: Header=BB6_447 Depth=3
	s_or_b32 exec_lo, exec_lo, s44
	s_and_saveexec_b32 s44, s45
	s_delay_alu instid0(SALU_CYCLE_1)
	s_xor_b32 s44, exec_lo, s44
	s_cbranch_execz .LBB6_504
; %bb.503:                              ;   in Loop: Header=BB6_447 Depth=3
	ds_store_b32 v0, v57
	s_trap 2
.LBB6_504:                              ;   in Loop: Header=BB6_447 Depth=3
	s_or_b32 exec_lo, exec_lo, s43
	;;#ASMSTART
	s_wakeup
	;;#ASMEND
.LBB6_505:                              ;   in Loop: Header=BB6_447 Depth=3
	s_or_b32 exec_lo, exec_lo, s42
.LBB6_506:                              ;   in Loop: Header=BB6_447 Depth=3
	s_and_not1_saveexec_b32 s41, s41
	s_cbranch_execz .LBB6_508
; %bb.507:                              ;   in Loop: Header=BB6_447 Depth=3
	global_wb scope:SCOPE_DEV
	s_wait_storecnt 0x0
	s_wait_loadcnt_dscnt 0x0
	global_inv scope:SCOPE_DEV
	s_barrier_signal -1
	s_barrier_wait -1
.LBB6_508:                              ;   in Loop: Header=BB6_447 Depth=3
	s_or_b32 exec_lo, exec_lo, s41
.LBB6_509:                              ;   in Loop: Header=BB6_447 Depth=3
	s_delay_alu instid0(SALU_CYCLE_1) | instskip(SKIP_3) | instid1(VALU_DEP_1)
	s_or_b32 exec_lo, exec_lo, s10
	s_trap 2
	ds_load_b64 v[102:103], v0
	v_sub_nc_u32_e32 v34, v118, v8
	v_min_i32_e32 v119, v119, v34
	s_wait_dscnt 0x0
	v_cmp_eq_u64_e32 vcc_lo, 0, v[102:103]
	s_cbranch_vccnz .LBB6_517
; %bb.510:                              ;   in Loop: Header=BB6_447 Depth=3
	s_trap 2
	ds_load_b64 v[112:113], v0
	s_wait_dscnt 0x0
	v_cmp_eq_u64_e32 vcc_lo, 0, v[112:113]
	s_cbranch_vccnz .LBB6_517
; %bb.511:                              ;   in Loop: Header=BB6_447 Depth=3
	s_mov_b32 s10, -1
	s_and_saveexec_b32 s41, s7
	s_cbranch_execz .LBB6_513
; %bb.512:                              ;   in Loop: Header=BB6_447 Depth=3
	ds_load_b32 v34, v0 offset:720
	s_wait_dscnt 0x0
	v_and_b32_e32 v34, 15, v34
	s_delay_alu instid0(VALU_DEP_1)
	v_cmp_eq_u32_e32 vcc_lo, 0, v34
	s_or_not1_b32 s10, vcc_lo, exec_lo
.LBB6_513:                              ;   in Loop: Header=BB6_447 Depth=3
	s_or_b32 exec_lo, exec_lo, s41
	s_and_saveexec_b32 s41, s6
	s_cbranch_execz .LBB6_515
; %bb.514:                              ;   in Loop: Header=BB6_447 Depth=3
	ds_load_b32 v34, v0 offset:784
	s_wait_dscnt 0x0
	v_and_b32_e32 v34, 15, v34
	s_delay_alu instid0(VALU_DEP_1) | instskip(SKIP_3) | instid1(SALU_CYCLE_1)
	v_cmp_eq_u32_e32 vcc_lo, 0, v34
	s_and_b32 s42, s10, vcc_lo
	s_and_not1_b32 s10, s10, exec_lo
	s_and_b32 s42, s42, exec_lo
	s_or_b32 s10, s10, s42
.LBB6_515:                              ;   in Loop: Header=BB6_447 Depth=3
	s_or_b32 exec_lo, exec_lo, s41
	v_cmp_eq_u32_e32 vcc_lo, 0, v9
	s_xor_b32 s10, s10, -1
	v_mov_b32_e32 v114, v68
	v_cndmask_b32_e64 v34, 0, 1, s10
	s_mov_b32 s42, -1
	v_dual_cndmask_b32 v9, 0, v119, vcc_lo :: v_dual_mov_b32 v117, v0
	s_delay_alu instid0(VALU_DEP_2) | instskip(NEXT) | instid1(VALU_DEP_2)
	v_cmp_ne_u32_e32 vcc_lo, 0, v34
	v_dual_mov_b32 v34, 0 :: v_dual_mov_b32 v116, v9
	s_cbranch_vccz .LBB6_518
; %bb.516:                              ;   in Loop: Header=BB6_447 Depth=3
	s_and_saveexec_b32 s10, s42
	s_cbranch_execnz .LBB6_531
	s_branch .LBB6_539
.LBB6_517:                              ;   in Loop: Header=BB6_447 Depth=3
	s_mov_b32 s10, 0
	s_and_saveexec_b32 s41, s1
	s_cbranch_execnz .LBB6_540
	s_branch .LBB6_558
.LBB6_518:                              ;   in Loop: Header=BB6_447 Depth=3
	v_ashrrev_i32_e32 v34, 31, v9
	s_mov_b32 s10, exec_lo
	s_delay_alu instid0(VALU_DEP_1) | instskip(NEXT) | instid1(VALU_DEP_1)
	v_lshrrev_b32_e32 v34, 20, v34
	v_add_nc_u32_e32 v34, v9, v34
	s_delay_alu instid0(VALU_DEP_1) | instskip(NEXT) | instid1(VALU_DEP_1)
	v_ashrrev_i32_e32 v34, 12, v34
	v_sub_nc_u32_e32 v41, v34, v68
	s_delay_alu instid0(VALU_DEP_1)
	v_cmpx_lt_i32_e32 0, v41
	s_cbranch_execz .LBB6_522
; %bb.519:                              ;   in Loop: Header=BB6_447 Depth=3
	v_mov_b64_e32 v[114:115], v[112:113]
	v_mov_b64_e32 v[116:117], v[102:103]
	s_mov_b32 s41, 0
.LBB6_520:                              ;   Parent Loop BB6_53 Depth=1
                                        ;     Parent Loop BB6_89 Depth=2
                                        ;       Parent Loop BB6_447 Depth=3
                                        ; =>      This Inner Loop Header: Depth=4
	s_delay_alu instid0(VALU_DEP_1)
	v_add_nc_u64_e32 v[46:47], v[70:71], v[116:117]
	v_sub_nc_u32_e32 v41, v41, v36
	v_add_nc_u64_e32 v[116:117], v[116:117], v[50:51]
	s_clause 0x7
	global_load_b128 v[42:45], v[46:47], off th:TH_LOAD_NT
	global_load_b128 v[60:63], v[46:47], off offset:512 th:TH_LOAD_NT
	global_load_b128 v[72:75], v[46:47], off offset:1024 th:TH_LOAD_NT
	;; [unrolled: 1-line block ×7, first 2 shown]
	s_wait_xcnt 0x0
	v_add_nc_u64_e32 v[46:47], v[70:71], v[114:115]
	v_add_nc_u64_e32 v[114:115], v[114:115], v[50:51]
	v_cmp_gt_i32_e32 vcc_lo, 1, v41
	s_wait_loadcnt 0x7
	global_store_b128 v[46:47], v[42:45], off th:TH_STORE_NT
	s_wait_loadcnt 0x6
	global_store_b128 v[46:47], v[60:63], off offset:512 th:TH_STORE_NT
	s_wait_loadcnt 0x5
	global_store_b128 v[46:47], v[72:75], off offset:1024 th:TH_STORE_NT
	s_wait_loadcnt 0x4
	global_store_b128 v[46:47], v[76:79], off offset:1536 th:TH_STORE_NT
	s_wait_loadcnt 0x3
	global_store_b128 v[46:47], v[88:91], off offset:2048 th:TH_STORE_NT
	s_wait_loadcnt 0x2
	global_store_b128 v[46:47], v[92:95], off offset:2560 th:TH_STORE_NT
	s_wait_loadcnt 0x1
	global_store_b128 v[46:47], v[104:107], off offset:3072 th:TH_STORE_NT
	s_wait_loadcnt 0x0
	global_store_b128 v[46:47], v[108:111], off offset:3584 th:TH_STORE_NT
	s_or_b32 s41, vcc_lo, s41
	s_wait_xcnt 0x0
	s_and_not1_b32 exec_lo, exec_lo, s41
	s_cbranch_execnz .LBB6_520
; %bb.521:                              ;   in Loop: Header=BB6_447 Depth=3
	s_or_b32 exec_lo, exec_lo, s41
.LBB6_522:                              ;   in Loop: Header=BB6_447 Depth=3
	s_delay_alu instid0(SALU_CYCLE_1) | instskip(SKIP_3) | instid1(VALU_DEP_1)
	s_or_b32 exec_lo, exec_lo, s10
	v_dual_lshlrev_b32 v40, 12, v34 :: v_dual_mov_b32 v34, 0
	s_mov_b32 s42, 0
	s_mov_b32 s41, exec_lo
                                        ; implicit-def: $vgpr116
                                        ; implicit-def: $vgpr117
                                        ; implicit-def: $vgpr114
	v_cmpx_ne_u32_e64 v9, v40
	s_cbranch_execz .LBB6_530
; %bb.523:                              ;   in Loop: Header=BB6_447 Depth=3
	v_dual_lshlrev_b32 v34, 5, v41 :: v_dual_sub_nc_u32 v115, v9, v40
	s_mov_b32 s42, exec_lo
	s_delay_alu instid0(VALU_DEP_1) | instskip(NEXT) | instid1(VALU_DEP_1)
	v_dual_sub_nc_u32 v34, v58, v34 :: v_dual_ashrrev_i32 v116, 31, v115
	v_dual_ashrrev_i32 v114, 31, v34 :: v_dual_lshrrev_b32 v116, 23, v116
	s_delay_alu instid0(VALU_DEP_1) | instskip(NEXT) | instid1(VALU_DEP_1)
	v_dual_lshrrev_b32 v114, 27, v114 :: v_dual_add_nc_u32 v116, v115, v116
	v_add_nc_u32_e32 v114, v34, v114
	s_delay_alu instid0(VALU_DEP_2) | instskip(SKIP_1) | instid1(VALU_DEP_3)
	v_and_b32_e32 v41, 0xfffffe00, v116
	v_ashrrev_i32_e32 v116, 9, v116
	v_and_b32_e32 v117, 0xffffffe0, v114
	s_delay_alu instid0(VALU_DEP_3) | instskip(NEXT) | instid1(VALU_DEP_2)
	v_sub_nc_u32_e32 v43, v115, v41
	v_dual_sub_nc_u32 v42, v34, v117 :: v_dual_ashrrev_i32 v117, 5, v114
	s_delay_alu instid0(VALU_DEP_2) | instskip(NEXT) | instid1(VALU_DEP_2)
	v_cmp_lt_i32_e32 vcc_lo, 15, v43
	v_lshlrev_b32_e32 v34, 4, v42
	v_add_co_ci_u32_e64 v116, null, 0, v116, vcc_lo
	s_delay_alu instid0(VALU_DEP_2) | instskip(NEXT) | instid1(VALU_DEP_1)
	v_lshl_add_u32 v114, v117, 9, v34
	v_dual_sub_nc_u32 v44, v116, v117 :: v_dual_sub_nc_u32 v34, v115, v114
	s_delay_alu instid0(VALU_DEP_1)
	v_cmpx_lt_i32_e32 15, v34
	s_cbranch_execz .LBB6_527
; %bb.524:                              ;   in Loop: Header=BB6_447 Depth=3
	v_add_nc_u32_e32 v114, v114, v40
	s_mov_b32 s43, 0
	s_delay_alu instid0(VALU_DEP_1)
	v_ashrrev_i32_e32 v115, 31, v114
.LBB6_525:                              ;   Parent Loop BB6_53 Depth=1
                                        ;     Parent Loop BB6_89 Depth=2
                                        ;       Parent Loop BB6_447 Depth=3
                                        ; =>      This Inner Loop Header: Depth=4
	s_delay_alu instid0(VALU_DEP_1) | instskip(SKIP_2) | instid1(VALU_DEP_2)
	v_add_nc_u64_e32 v[116:117], v[102:103], v[114:115]
	v_sub_nc_u32_e32 v34, v34, v52
	v_sub_nc_u32_e32 v44, v44, v36
	v_cmp_gt_i32_e64 s10, 16, v34
	global_load_b128 v[60:63], v[116:117], off th:TH_LOAD_NT
	s_wait_xcnt 0x0
	v_add_nc_u64_e32 v[116:117], v[112:113], v[114:115]
	v_add_nc_u64_e32 v[114:115], v[114:115], v[52:53]
	s_or_b32 s43, s10, s43
	s_wait_loadcnt 0x0
	global_store_b128 v[116:117], v[60:63], off th:TH_STORE_NT
	s_wait_xcnt 0x0
	s_and_not1_b32 exec_lo, exec_lo, s43
	s_cbranch_execnz .LBB6_525
; %bb.526:                              ;   in Loop: Header=BB6_447 Depth=3
	s_or_b32 exec_lo, exec_lo, s43
.LBB6_527:                              ;   in Loop: Header=BB6_447 Depth=3
	s_delay_alu instid0(SALU_CYCLE_1) | instskip(SKIP_3) | instid1(VALU_DEP_1)
	s_or_b32 exec_lo, exec_lo, s42
	v_dual_mov_b32 v34, 0 :: v_dual_bitop2_b32 v115, 15, v9 bitop3:0x40
	s_mov_b32 s42, 0
	s_mov_b32 s43, exec_lo
                                        ; implicit-def: $vgpr117
                                        ; implicit-def: $vgpr114
	v_cndmask_b32_e32 v116, v43, v115, vcc_lo
	s_delay_alu instid0(VALU_DEP_1)
	v_cmpx_ne_u32_e32 0, v116
	s_cbranch_execz .LBB6_529
; %bb.528:                              ;   in Loop: Header=BB6_447 Depth=3
	v_cmp_lt_i32_e64 s10, 0, v44
	s_mov_b32 s42, exec_lo
	v_dual_sub_nc_u32 v114, v43, v115 :: v_dual_cndmask_b32 v34, 0, v36, s10
	s_delay_alu instid0(VALU_DEP_1) | instskip(NEXT) | instid1(VALU_DEP_1)
	v_dual_cndmask_b32 v114, 0, v114, vcc_lo :: v_dual_sub_nc_u32 v34, v34, v44
	v_lshl_add_u32 v117, v34, 5, v42
	s_delay_alu instid0(VALU_DEP_1) | instskip(NEXT) | instid1(VALU_DEP_1)
	v_ashrrev_i32_e32 v34, 31, v117
	v_lshrrev_b32_e32 v34, 27, v34
	s_delay_alu instid0(VALU_DEP_1) | instskip(SKIP_1) | instid1(VALU_DEP_2)
	v_add_nc_u32_e32 v115, v117, v34
	v_add3_u32 v34, v41, v40, v114
	v_ashrrev_i32_e32 v114, 5, v115
.LBB6_529:                              ;   in Loop: Header=BB6_447 Depth=3
	s_or_b32 exec_lo, exec_lo, s43
	s_delay_alu instid0(SALU_CYCLE_1)
	s_and_b32 s42, s42, exec_lo
.LBB6_530:                              ;   in Loop: Header=BB6_447 Depth=3
	s_or_b32 exec_lo, exec_lo, s41
	s_and_saveexec_b32 s10, s42
	s_cbranch_execz .LBB6_539
.LBB6_531:                              ;   in Loop: Header=BB6_447 Depth=3
	v_ashrrev_i32_e32 v115, 31, v116
	s_mov_b32 s41, exec_lo
	s_delay_alu instid0(VALU_DEP_1) | instskip(NEXT) | instid1(VALU_DEP_1)
	v_lshrrev_b32_e32 v115, 22, v115
	v_add_nc_u32_e32 v115, v116, v115
	s_delay_alu instid0(VALU_DEP_1) | instskip(NEXT) | instid1(VALU_DEP_1)
	v_dual_ashrrev_i32 v42, 10, v115 :: v_dual_ashrrev_i32 v115, 31, v117
	v_dual_sub_nc_u32 v40, v42, v114 :: v_dual_lshrrev_b32 v41, 27, v115
	s_delay_alu instid0(VALU_DEP_1)
	v_cmpx_lt_i32_e32 0, v40
	s_cbranch_execz .LBB6_535
; %bb.532:                              ;   in Loop: Header=BB6_447 Depth=3
	s_delay_alu instid0(VALU_DEP_2) | instskip(SKIP_1) | instid1(VALU_DEP_1)
	v_dual_add_nc_u32 v115, v117, v41 :: v_dual_lshlrev_b32 v114, 10, v114
	s_mov_b32 s42, 0
	v_and_b32_e32 v115, 0xffffffe0, v115
	s_delay_alu instid0(VALU_DEP_1) | instskip(NEXT) | instid1(VALU_DEP_1)
	v_sub_nc_u32_e32 v115, v117, v115
	v_add3_u32 v114, v34, v115, v114
	s_delay_alu instid0(VALU_DEP_1)
	v_ashrrev_i32_e32 v115, 31, v114
.LBB6_533:                              ;   Parent Loop BB6_53 Depth=1
                                        ;     Parent Loop BB6_89 Depth=2
                                        ;       Parent Loop BB6_447 Depth=3
                                        ; =>      This Inner Loop Header: Depth=4
	s_delay_alu instid0(VALU_DEP_1)
	v_add_nc_u64_e32 v[44:45], v[114:115], v[102:103]
	v_sub_nc_u32_e32 v40, v40, v36
	v_add_nc_u64_e32 v[102:103], v[102:103], v[54:55]
	s_clause 0x1f
	flat_load_u8 v43, v[44:45] th:TH_LOAD_NT
	flat_load_u8 v46, v[44:45] offset:32 th:TH_LOAD_NT
	flat_load_u8 v47, v[44:45] offset:64 th:TH_LOAD_NT
	;; [unrolled: 1-line block ×31, first 2 shown]
	s_wait_xcnt 0x0
	v_add_nc_u64_e32 v[44:45], v[114:115], v[112:113]
	v_add_nc_u64_e32 v[112:113], v[112:113], v[54:55]
	v_cmp_gt_i32_e32 vcc_lo, 1, v40
	s_wait_loadcnt_dscnt 0x1f1f
	flat_store_b8 v[44:45], v43 th:TH_STORE_NT
	s_wait_loadcnt_dscnt 0x1e1f
	flat_store_b8 v[44:45], v46 offset:32 th:TH_STORE_NT
	s_wait_loadcnt_dscnt 0x1d1f
	flat_store_b8 v[44:45], v47 offset:64 th:TH_STORE_NT
	;; [unrolled: 2-line block ×31, first 2 shown]
	s_or_b32 s42, vcc_lo, s42
	s_wait_xcnt 0x0
	s_and_not1_b32 exec_lo, exec_lo, s42
	s_cbranch_execnz .LBB6_533
; %bb.534:                              ;   in Loop: Header=BB6_447 Depth=3
	s_or_b32 exec_lo, exec_lo, s42
.LBB6_535:                              ;   in Loop: Header=BB6_447 Depth=3
	s_delay_alu instid0(SALU_CYCLE_1) | instskip(SKIP_1) | instid1(VALU_DEP_1)
	s_or_b32 exec_lo, exec_lo, s41
	v_lshlrev_b32_e32 v102, 10, v42
	v_cmp_ne_u32_e32 vcc_lo, v116, v102
	s_and_b32 exec_lo, exec_lo, vcc_lo
	s_cbranch_execz .LBB6_539
; %bb.536:                              ;   in Loop: Header=BB6_447 Depth=3
	v_dual_add_nc_u32 v103, v117, v41 :: v_dual_lshlrev_b32 v112, 5, v40
	s_delay_alu instid0(VALU_DEP_1) | instskip(NEXT) | instid1(VALU_DEP_1)
	v_and_b32_e32 v103, 0xffffffe0, v103
	v_sub_nc_u32_e32 v103, v117, v103
	s_delay_alu instid0(VALU_DEP_1) | instskip(NEXT) | instid1(VALU_DEP_1)
	v_sub_nc_u32_e32 v103, v103, v112
	v_add_nc_u32_e32 v112, v102, v103
	s_delay_alu instid0(VALU_DEP_1) | instskip(NEXT) | instid1(VALU_DEP_1)
	v_sub_nc_u32_e32 v114, v116, v112
	v_cmp_lt_i32_e32 vcc_lo, 0, v114
	s_and_b32 exec_lo, exec_lo, vcc_lo
	s_cbranch_execz .LBB6_539
; %bb.537:                              ;   in Loop: Header=BB6_447 Depth=3
	s_trap 2
	ds_load_b64 v[102:103], v0
	v_add_nc_u32_e32 v112, v112, v34
	s_mov_b32 s41, 0
	s_delay_alu instid0(VALU_DEP_1)
	v_ashrrev_i32_e32 v113, 31, v112
.LBB6_538:                              ;   Parent Loop BB6_53 Depth=1
                                        ;     Parent Loop BB6_89 Depth=2
                                        ;       Parent Loop BB6_447 Depth=3
                                        ; =>      This Inner Loop Header: Depth=4
	s_wait_dscnt 0x0
	s_delay_alu instid0(VALU_DEP_1) | instskip(SKIP_2) | instid1(VALU_DEP_2)
	v_add_nc_u64_e32 v[116:117], v[102:103], v[112:113]
	v_sub_nc_u32_e32 v114, v114, v38
	v_add_nc_u64_e32 v[112:113], v[112:113], v[38:39]
	v_cmp_gt_i32_e32 vcc_lo, 1, v114
	flat_load_u8 v34, v[116:117] th:TH_LOAD_NT
	s_or_b32 s41, vcc_lo, s41
	s_wait_loadcnt_dscnt 0x0
	flat_store_b8 v[116:117], v34 th:TH_STORE_NT
	s_wait_xcnt 0x0
	s_and_not1_b32 exec_lo, exec_lo, s41
	s_cbranch_execnz .LBB6_538
.LBB6_539:                              ;   in Loop: Header=BB6_447 Depth=3
	s_or_b32 exec_lo, exec_lo, s10
	v_cmp_lt_i32_e64 s10, 0, v9
	s_and_saveexec_b32 s41, s1
	s_cbranch_execz .LBB6_558
.LBB6_540:                              ;   in Loop: Header=BB6_447 Depth=3
	s_and_saveexec_b32 s42, s2
	s_delay_alu instid0(SALU_CYCLE_1)
	s_xor_b32 s42, exec_lo, s42
	s_cbranch_execz .LBB6_555
; %bb.541:                              ;   in Loop: Header=BB6_447 Depth=3
	s_and_saveexec_b32 s43, s5
	s_cbranch_execz .LBB6_554
; %bb.542:                              ;   in Loop: Header=BB6_447 Depth=3
	s_mov_b32 s45, exec_lo
	s_mov_b32 s44, exec_lo
	v_mbcnt_lo_u32_b32 v9, s45, 0
	global_wb scope:SCOPE_DEV
	s_wait_storecnt 0x0
	s_wait_loadcnt_dscnt 0x0
	global_inv scope:SCOPE_DEV
	v_cmpx_eq_u32_e32 0, v9
	s_cbranch_execz .LBB6_544
; %bb.543:                              ;   in Loop: Header=BB6_447 Depth=3
	s_bcnt1_i32_b32 s45, s45
	s_delay_alu instid0(SALU_CYCLE_1)
	v_mov_b32_e32 v34, s45
	s_wait_loadcnt 0x0
	ds_add_u64 v0, v[34:35]
	s_trap 2
.LBB6_544:                              ;   in Loop: Header=BB6_447 Depth=3
	s_or_b32 exec_lo, exec_lo, s44
	s_trap 2
	ds_load_b64 v[102:103], v0
	s_wait_dscnt 0x0
	v_add_nc_u64_e32 v[10:11], v[10:11], v[36:37]
	s_mov_b32 s44, exec_lo
	s_delay_alu instid0(VALU_DEP_1)
	v_cmpx_lt_u64_e64 v[102:103], v[10:11]
	s_cbranch_execz .LBB6_553
; %bb.545:                              ;   in Loop: Header=BB6_447 Depth=3
	s_mov_b32 s45, 0
	s_mov_b32 s56, 0
                                        ; implicit-def: $sgpr46
                                        ; implicit-def: $sgpr47
	s_branch .LBB6_547
.LBB6_546:                              ;   in Loop: Header=BB6_547 Depth=4
	s_or_b32 exec_lo, exec_lo, s58
	s_delay_alu instid0(SALU_CYCLE_1) | instskip(NEXT) | instid1(SALU_CYCLE_1)
	s_and_b32 s57, exec_lo, s59
	s_or_b32 s45, s57, s45
	s_and_not1_b32 s46, s46, exec_lo
	s_and_b32 s57, s47, exec_lo
	s_delay_alu instid0(SALU_CYCLE_1)
	s_or_b32 s46, s46, s57
	s_and_not1_b32 exec_lo, exec_lo, s45
	s_cbranch_execz .LBB6_551
.LBB6_547:                              ;   Parent Loop BB6_53 Depth=1
                                        ;     Parent Loop BB6_89 Depth=2
                                        ;       Parent Loop BB6_447 Depth=3
                                        ; =>      This Inner Loop Header: Depth=4
	s_add_co_i32 s56, s56, 1
	s_delay_alu instid0(SALU_CYCLE_1) | instskip(SKIP_1) | instid1(SALU_CYCLE_1)
	s_cmp_lg_u32 s56, 0x2710
	s_cselect_b32 s57, -1, 0
	s_and_b32 vcc_lo, exec_lo, s57
	s_cbranch_vccz .LBB6_549
; %bb.548:                              ;   in Loop: Header=BB6_547 Depth=4
	s_mov_b32 s59, -1
	s_or_b32 s47, s47, exec_lo
	s_and_saveexec_b32 s58, s57
	s_cbranch_execz .LBB6_546
	s_branch .LBB6_550
.LBB6_549:                              ;   in Loop: Header=BB6_547 Depth=4
	s_trap 2
	ds_load_b64 v[102:103], v0
	s_and_not1_b32 s57, s57, exec_lo
	s_mov_b32 s56, 0
	s_wait_loadcnt_dscnt 0x0
	flat_load_b32 v9, v[102:103] scope:SCOPE_SYS
	s_wait_loadcnt_dscnt 0x0
	global_inv scope:SCOPE_SYS
	v_cmp_eq_u32_e32 vcc_lo, 0, v9
	s_and_b32 s58, vcc_lo, exec_lo
	s_delay_alu instid0(SALU_CYCLE_1)
	s_or_b32 s57, s57, s58
	s_mov_b32 s59, -1
	s_or_b32 s47, s47, exec_lo
	s_and_saveexec_b32 s58, s57
	s_cbranch_execz .LBB6_546
.LBB6_550:                              ;   in Loop: Header=BB6_547 Depth=4
	s_sleep 1
	s_trap 2
	ds_load_b64 v[102:103], v0
	s_wait_dscnt 0x0
	s_and_not1_b32 s47, s47, exec_lo
	v_cmp_ge_u64_e32 vcc_lo, v[102:103], v[10:11]
	s_or_not1_b32 s59, vcc_lo, exec_lo
	s_branch .LBB6_546
.LBB6_551:                              ;   in Loop: Header=BB6_447 Depth=3
	s_or_b32 exec_lo, exec_lo, s45
	s_and_saveexec_b32 s45, s46
	s_delay_alu instid0(SALU_CYCLE_1)
	s_xor_b32 s45, exec_lo, s45
	s_cbranch_execz .LBB6_553
; %bb.552:                              ;   in Loop: Header=BB6_447 Depth=3
	ds_store_b32 v0, v57
	s_trap 2
.LBB6_553:                              ;   in Loop: Header=BB6_447 Depth=3
	s_or_b32 exec_lo, exec_lo, s44
	;;#ASMSTART
	s_wakeup
	;;#ASMEND
.LBB6_554:                              ;   in Loop: Header=BB6_447 Depth=3
	s_or_b32 exec_lo, exec_lo, s43
.LBB6_555:                              ;   in Loop: Header=BB6_447 Depth=3
	s_and_not1_saveexec_b32 s42, s42
	s_cbranch_execz .LBB6_557
; %bb.556:                              ;   in Loop: Header=BB6_447 Depth=3
	global_wb scope:SCOPE_DEV
	s_wait_storecnt 0x0
	s_wait_loadcnt_dscnt 0x0
	global_inv scope:SCOPE_DEV
	s_barrier_signal -1
	s_barrier_wait -1
.LBB6_557:                              ;   in Loop: Header=BB6_447 Depth=3
	s_or_b32 exec_lo, exec_lo, s42
.LBB6_558:                              ;   in Loop: Header=BB6_447 Depth=3
	s_delay_alu instid0(SALU_CYCLE_1) | instskip(SKIP_1) | instid1(VALU_DEP_1)
	s_or_b32 exec_lo, exec_lo, s41
	v_and_b32_e32 v9, 16, v82
	v_cmp_ne_u32_e32 vcc_lo, 0, v9
	s_and_b32 s41, vcc_lo, s10
	s_delay_alu instid0(SALU_CYCLE_1)
	s_and_saveexec_b32 s10, s41
	s_cbranch_execz .LBB6_560
; %bb.559:                              ;   in Loop: Header=BB6_447 Depth=3
	global_wb scope:SCOPE_SYS
	s_wait_storecnt 0x0
	s_wait_loadcnt_dscnt 0x0
	global_inv scope:SCOPE_SYS
.LBB6_560:                              ;   in Loop: Header=BB6_447 Depth=3
	s_or_b32 exec_lo, exec_lo, s10
	v_and_b32_e32 v9, 32, v82
	s_mov_b32 s10, exec_lo
	s_delay_alu instid0(VALU_DEP_1)
	v_cmpx_ne_u32_e32 0, v9
	s_cbranch_execz .LBB6_446
; %bb.561:                              ;   in Loop: Header=BB6_447 Depth=3
	v_add_nc_u64_e32 v[84:85], 2, v[84:85]
	global_wb scope:SCOPE_SYS
	s_wait_storecnt 0x0
	s_wait_loadcnt_dscnt 0x0
	flat_store_b64 v[18:19], v[84:85] scope:SCOPE_SYS
	s_branch .LBB6_446
.LBB6_562:                              ;   in Loop: Header=BB6_89 Depth=2
	s_or_b32 exec_lo, exec_lo, s28
.LBB6_563:                              ;   in Loop: Header=BB6_89 Depth=2
	s_delay_alu instid0(SALU_CYCLE_1) | instskip(NEXT) | instid1(SALU_CYCLE_1)
	s_or_b32 exec_lo, exec_lo, s27
	s_mov_b32 s27, exec_lo
	v_cmpx_gt_i32_e32 2, v9
	s_cbranch_execz .LBB6_88
; %bb.564:                              ;   in Loop: Header=BB6_89 Depth=2
	v_cmp_eq_u32_e64 s29, 0, v9
	s_mov_b32 s28, 0
	s_branch .LBB6_566
.LBB6_565:                              ;   in Loop: Header=BB6_566 Depth=3
	s_wait_xcnt 0x0
	s_or_b32 exec_lo, exec_lo, s10
	v_add_nc_u32_e32 v8, v119, v8
	s_mov_b32 s29, 0
	s_and_not1_b32 exec_lo, exec_lo, s28
	s_cbranch_execz .LBB6_87
.LBB6_566:                              ;   Parent Loop BB6_53 Depth=1
                                        ;     Parent Loop BB6_89 Depth=2
                                        ; =>    This Loop Header: Depth=3
                                        ;         Child Loop BB6_572 Depth 4
                                        ;         Child Loop BB6_596 Depth 4
	v_and_b32_e32 v9, 4, v82
	s_mov_b32 s40, exec_lo
	s_delay_alu instid0(VALU_DEP_1)
	v_cmpx_ne_u32_e32 0, v9
	s_cbranch_execz .LBB6_588
; %bb.567:                              ;   in Loop: Header=BB6_566 Depth=3
	v_add_nc_u64_e32 v[100:101], 2, v[84:85]
	s_mov_b32 s41, exec_lo
	s_wait_loadcnt 0x0
	s_delay_alu instid0(VALU_DEP_1)
	v_cmpx_lt_u64_e64 v[26:27], v[100:101]
	s_cbranch_execz .LBB6_579
; %bb.568:                              ;   in Loop: Header=BB6_566 Depth=3
	v_and_b32_e32 v9, 64, v82
	s_mov_b32 s42, 0
	s_mov_b32 s46, 0
                                        ; implicit-def: $sgpr43
                                        ; implicit-def: $sgpr44
                                        ; implicit-def: $sgpr45
	s_delay_alu instid0(VALU_DEP_1)
	v_cmp_eq_u32_e32 vcc_lo, 0, v9
	s_branch .LBB6_572
.LBB6_569:                              ;   in Loop: Header=BB6_572 Depth=4
	s_wait_loadcnt_dscnt 0x0
	v_cmp_ge_u64_e64 s10, v[26:27], v[100:101]
	s_or_b32 s57, s57, exec_lo
	s_or_not1_b32 s56, s10, exec_lo
.LBB6_570:                              ;   in Loop: Header=BB6_572 Depth=4
	s_or_b32 exec_lo, exec_lo, s59
	s_delay_alu instid0(SALU_CYCLE_1)
	s_and_not1_b32 s10, s45, exec_lo
	s_and_b32 s45, s57, exec_lo
	s_and_not1_b32 s44, s44, exec_lo
	s_and_b32 s56, s56, exec_lo
	s_or_b32 s45, s10, s45
	s_or_b32 s44, s44, s56
.LBB6_571:                              ;   in Loop: Header=BB6_572 Depth=4
	s_or_b32 exec_lo, exec_lo, s47
	s_delay_alu instid0(SALU_CYCLE_1) | instskip(NEXT) | instid1(SALU_CYCLE_1)
	s_and_b32 s10, exec_lo, s44
	s_or_b32 s42, s10, s42
	s_and_not1_b32 s10, s43, exec_lo
	s_and_b32 s43, s45, exec_lo
	s_delay_alu instid0(SALU_CYCLE_1)
	s_or_b32 s43, s10, s43
	s_and_not1_b32 exec_lo, exec_lo, s42
	s_cbranch_execz .LBB6_576
.LBB6_572:                              ;   Parent Loop BB6_53 Depth=1
                                        ;     Parent Loop BB6_89 Depth=2
                                        ;       Parent Loop BB6_566 Depth=3
                                        ; =>      This Inner Loop Header: Depth=4
	s_sleep 1
	s_wait_loadcnt_dscnt 0x0
	flat_load_b64 v[26:27], v[18:19] scope:SCOPE_SYS
	s_or_b32 s45, s45, exec_lo
	s_or_b32 s44, s44, exec_lo
                                        ; implicit-def: $vgpr9
	s_wait_xcnt 0x0
	s_and_saveexec_b32 s47, vcc_lo
	s_cbranch_execz .LBB6_571
; %bb.573:                              ;   in Loop: Header=BB6_572 Depth=4
	s_cmp_lt_i32 s46, 0x270f
	s_mov_b32 s56, -1
	s_cselect_b32 s58, -1, 0
	s_cmp_gt_i32 s46, 0x270e
	s_cbranch_scc0 .LBB6_575
; %bb.574:                              ;   in Loop: Header=BB6_572 Depth=4
	s_trap 2
	ds_load_b64 v[102:103], v0
	s_and_not1_b32 s46, s58, exec_lo
	s_mov_b32 s57, 0
	s_wait_storecnt 0x0
	s_wait_loadcnt_dscnt 0x0
	flat_load_b32 v9, v[102:103] scope:SCOPE_SYS
	s_wait_loadcnt_dscnt 0x0
	global_inv scope:SCOPE_SYS
	v_cmp_eq_u32_e64 s10, 0, v9
	s_and_b32 s10, s10, exec_lo
	s_delay_alu instid0(SALU_CYCLE_1)
	s_or_b32 s58, s46, s10
	s_mov_b32 s46, 0
	s_and_saveexec_b32 s59, s58
	s_cbranch_execz .LBB6_570
	s_branch .LBB6_569
.LBB6_575:                              ;   in Loop: Header=BB6_572 Depth=4
	s_add_co_i32 s46, s46, 1
	s_mov_b32 s57, -1
                                        ; implicit-def: $vgpr9
	s_and_saveexec_b32 s59, s58
	s_cbranch_execz .LBB6_570
	s_branch .LBB6_569
.LBB6_576:                              ;   in Loop: Header=BB6_566 Depth=3
	s_or_b32 exec_lo, exec_lo, s42
	s_xor_b32 s10, s43, -1
	s_delay_alu instid0(SALU_CYCLE_1) | instskip(NEXT) | instid1(SALU_CYCLE_1)
	s_and_saveexec_b32 s42, s10
	s_xor_b32 s10, exec_lo, s42
	s_cbranch_execz .LBB6_578
; %bb.577:                              ;   in Loop: Header=BB6_566 Depth=3
	v_or_b32_e32 v82, 64, v82
	s_wait_storecnt 0x0
	s_wait_loadcnt_dscnt 0x0
	ds_store_b32 v0, v9
	s_trap 2
.LBB6_578:                              ;   in Loop: Header=BB6_566 Depth=3
	s_or_b32 exec_lo, exec_lo, s10
.LBB6_579:                              ;   in Loop: Header=BB6_566 Depth=3
	s_delay_alu instid0(SALU_CYCLE_1)
	s_or_b32 exec_lo, exec_lo, s41
	v_and_b32_e32 v9, 0x100, v82
	v_and_b32_e32 v34, 7, v84
	s_mov_b32 s10, -1
	s_mov_b32 s41, exec_lo
	;;#ASMSTART
	s_wakeup
	;;#ASMEND
                                        ; implicit-def: $vgpr84_vgpr85
	v_cmpx_ne_u32_e32 0, v9
	s_cbranch_execz .LBB6_583
; %bb.580:                              ;   in Loop: Header=BB6_566 Depth=3
	v_mad_nc_u64_u32 v[102:103], v34, 24, v[4:5]
	s_mov_b32 s42, exec_lo
                                        ; implicit-def: $vgpr84_vgpr85
	flat_load_b32 v9, v[102:103]
	s_wait_loadcnt_dscnt 0x0
	v_cmp_ne_u32_e32 vcc_lo, 1, v9
	s_wait_xcnt 0x0
	v_cmpx_eq_u32_e32 1, v9
	s_cbranch_execz .LBB6_582
; %bb.581:                              ;   in Loop: Header=BB6_566 Depth=3
	flat_load_b32 v84, v[102:103] offset:4 scope:SCOPE_SYS
	s_wait_loadcnt_dscnt 0x0
	v_ashrrev_i32_e32 v85, 31, v84
.LBB6_582:                              ;   in Loop: Header=BB6_566 Depth=3
	s_wait_xcnt 0x0
	s_or_b32 exec_lo, exec_lo, s42
	s_delay_alu instid0(SALU_CYCLE_1)
	s_or_not1_b32 s10, vcc_lo, exec_lo
.LBB6_583:                              ;   in Loop: Header=BB6_566 Depth=3
	s_or_b32 exec_lo, exec_lo, s41
	s_and_saveexec_b32 s41, s10
; %bb.584:                              ;   in Loop: Header=BB6_566 Depth=3
	v_mul_u64_e32 v[84:85], v[34:35], v[20:21]
; %bb.585:                              ;   in Loop: Header=BB6_566 Depth=3
	s_or_b32 exec_lo, exec_lo, s41
	s_delay_alu instid0(VALU_DEP_1)
	v_add_nc_u64_e32 v[84:85], v[22:23], v[84:85]
	v_and_b32_e32 v9, 0x2000, v82
	s_mov_b32 s10, exec_lo
	ds_store_b64 v0, v[84:85] offset:720
	v_cmpx_ne_u32_e32 0, v9
	s_cbranch_execz .LBB6_587
; %bb.586:                              ;   in Loop: Header=BB6_566 Depth=3
	ds_load_b64 v[84:85], v0 offset:872
	s_wait_dscnt 0x0
	v_add_nc_u64_e32 v[84:85], 1, v[84:85]
	ds_store_b64 v0, v[84:85] offset:872
.LBB6_587:                              ;   in Loop: Header=BB6_566 Depth=3
	s_or_b32 exec_lo, exec_lo, s10
	v_mov_b64_e32 v[84:85], v[100:101]
.LBB6_588:                              ;   in Loop: Header=BB6_566 Depth=3
	s_or_b32 exec_lo, exec_lo, s40
	s_xor_b32 s10, s29, -1
	s_delay_alu instid0(SALU_CYCLE_1) | instskip(NEXT) | instid1(SALU_CYCLE_1)
	s_and_b32 s10, exec_lo, s10
	s_or_b32 s28, s10, s28
	s_and_saveexec_b32 s10, s1
	s_cbranch_execz .LBB6_607
; %bb.589:                              ;   in Loop: Header=BB6_566 Depth=3
	s_and_saveexec_b32 s29, s2
	s_delay_alu instid0(SALU_CYCLE_1)
	s_xor_b32 s29, exec_lo, s29
	s_cbranch_execz .LBB6_604
; %bb.590:                              ;   in Loop: Header=BB6_566 Depth=3
	s_and_saveexec_b32 s40, s5
	s_cbranch_execz .LBB6_603
; %bb.591:                              ;   in Loop: Header=BB6_566 Depth=3
	s_mov_b32 s42, exec_lo
	s_mov_b32 s41, exec_lo
	v_mbcnt_lo_u32_b32 v9, s42, 0
	global_wb scope:SCOPE_DEV
	s_wait_storecnt 0x0
	s_wait_loadcnt_dscnt 0x0
	global_inv scope:SCOPE_DEV
	v_cmpx_eq_u32_e32 0, v9
	s_cbranch_execz .LBB6_593
; %bb.592:                              ;   in Loop: Header=BB6_566 Depth=3
	s_bcnt1_i32_b32 s42, s42
	s_delay_alu instid0(SALU_CYCLE_1)
	v_mov_b32_e32 v34, s42
	s_wait_loadcnt 0x0
	ds_add_u64 v0, v[34:35]
	s_trap 2
.LBB6_593:                              ;   in Loop: Header=BB6_566 Depth=3
	s_or_b32 exec_lo, exec_lo, s41
	s_trap 2
	ds_load_b64 v[100:101], v0
	s_wait_dscnt 0x0
	v_add_nc_u64_e32 v[10:11], v[10:11], v[36:37]
	s_mov_b32 s41, exec_lo
	s_delay_alu instid0(VALU_DEP_1)
	v_cmpx_lt_u64_e64 v[100:101], v[10:11]
	s_cbranch_execz .LBB6_602
; %bb.594:                              ;   in Loop: Header=BB6_566 Depth=3
	s_mov_b32 s42, 0
	s_mov_b32 s45, 0
                                        ; implicit-def: $sgpr43
                                        ; implicit-def: $sgpr44
	s_branch .LBB6_596
.LBB6_595:                              ;   in Loop: Header=BB6_596 Depth=4
	s_or_b32 exec_lo, exec_lo, s47
	s_delay_alu instid0(SALU_CYCLE_1) | instskip(NEXT) | instid1(SALU_CYCLE_1)
	s_and_b32 s46, exec_lo, s56
	s_or_b32 s42, s46, s42
	s_and_not1_b32 s43, s43, exec_lo
	s_and_b32 s46, s44, exec_lo
	s_delay_alu instid0(SALU_CYCLE_1)
	s_or_b32 s43, s43, s46
	s_and_not1_b32 exec_lo, exec_lo, s42
	s_cbranch_execz .LBB6_600
.LBB6_596:                              ;   Parent Loop BB6_53 Depth=1
                                        ;     Parent Loop BB6_89 Depth=2
                                        ;       Parent Loop BB6_566 Depth=3
                                        ; =>      This Inner Loop Header: Depth=4
	s_add_co_i32 s45, s45, 1
	s_delay_alu instid0(SALU_CYCLE_1) | instskip(SKIP_1) | instid1(SALU_CYCLE_1)
	s_cmp_lg_u32 s45, 0x2710
	s_cselect_b32 s46, -1, 0
	s_and_b32 vcc_lo, exec_lo, s46
	s_cbranch_vccz .LBB6_598
; %bb.597:                              ;   in Loop: Header=BB6_596 Depth=4
	s_mov_b32 s56, -1
	s_or_b32 s44, s44, exec_lo
	s_and_saveexec_b32 s47, s46
	s_cbranch_execz .LBB6_595
	s_branch .LBB6_599
.LBB6_598:                              ;   in Loop: Header=BB6_596 Depth=4
	s_trap 2
	ds_load_b64 v[100:101], v0
	s_and_not1_b32 s46, s46, exec_lo
	s_mov_b32 s45, 0
	s_wait_loadcnt_dscnt 0x0
	flat_load_b32 v9, v[100:101] scope:SCOPE_SYS
	s_wait_loadcnt_dscnt 0x0
	global_inv scope:SCOPE_SYS
	v_cmp_eq_u32_e32 vcc_lo, 0, v9
	s_and_b32 s47, vcc_lo, exec_lo
	s_delay_alu instid0(SALU_CYCLE_1)
	s_or_b32 s46, s46, s47
	s_mov_b32 s56, -1
	s_or_b32 s44, s44, exec_lo
	s_and_saveexec_b32 s47, s46
	s_cbranch_execz .LBB6_595
.LBB6_599:                              ;   in Loop: Header=BB6_596 Depth=4
	s_sleep 1
	s_trap 2
	ds_load_b64 v[100:101], v0
	s_wait_dscnt 0x0
	s_and_not1_b32 s44, s44, exec_lo
	v_cmp_ge_u64_e32 vcc_lo, v[100:101], v[10:11]
	s_or_not1_b32 s56, vcc_lo, exec_lo
	s_branch .LBB6_595
.LBB6_600:                              ;   in Loop: Header=BB6_566 Depth=3
	s_or_b32 exec_lo, exec_lo, s42
	s_and_saveexec_b32 s42, s43
	s_delay_alu instid0(SALU_CYCLE_1)
	s_xor_b32 s42, exec_lo, s42
	s_cbranch_execz .LBB6_602
; %bb.601:                              ;   in Loop: Header=BB6_566 Depth=3
	ds_store_b32 v0, v57
	s_trap 2
.LBB6_602:                              ;   in Loop: Header=BB6_566 Depth=3
	s_or_b32 exec_lo, exec_lo, s41
	;;#ASMSTART
	s_wakeup
	;;#ASMEND
.LBB6_603:                              ;   in Loop: Header=BB6_566 Depth=3
	s_or_b32 exec_lo, exec_lo, s40
.LBB6_604:                              ;   in Loop: Header=BB6_566 Depth=3
	s_and_not1_saveexec_b32 s29, s29
	s_cbranch_execz .LBB6_606
; %bb.605:                              ;   in Loop: Header=BB6_566 Depth=3
	global_wb scope:SCOPE_DEV
	s_wait_storecnt 0x0
	s_wait_loadcnt_dscnt 0x0
	global_inv scope:SCOPE_DEV
	s_barrier_signal -1
	s_barrier_wait -1
.LBB6_606:                              ;   in Loop: Header=BB6_566 Depth=3
	s_or_b32 exec_lo, exec_lo, s29
.LBB6_607:                              ;   in Loop: Header=BB6_566 Depth=3
	s_delay_alu instid0(SALU_CYCLE_1)
	s_or_b32 exec_lo, exec_lo, s10
	s_trap 2
	ds_load_b32 v9, v0
	v_sub_nc_u32_e32 v34, v118, v8
	s_wait_dscnt 0x0
	v_readfirstlane_b32 s10, v9
	v_and_b32_e32 v9, 16, v82
	s_delay_alu instid0(VALU_DEP_3) | instskip(SKIP_1) | instid1(VALU_DEP_2)
	v_min_i32_e32 v119, v119, v34
	s_cmp_eq_u32 s10, 0
	v_cmp_ne_u32_e64 s10, 0, v9
	s_delay_alu instid0(VALU_DEP_2) | instskip(SKIP_1) | instid1(SALU_CYCLE_1)
	v_cmp_lt_i32_e32 vcc_lo, 0, v119
	s_cselect_b32 s29, -1, 0
	s_and_b32 s29, vcc_lo, s29
	s_delay_alu instid0(SALU_CYCLE_1) | instskip(NEXT) | instid1(SALU_CYCLE_1)
	s_and_b32 s29, s10, s29
	s_and_saveexec_b32 s10, s29
	s_cbranch_execz .LBB6_609
; %bb.608:                              ;   in Loop: Header=BB6_566 Depth=3
	global_wb scope:SCOPE_SYS
	s_wait_loadcnt 0x0
	s_wait_storecnt 0x0
	global_inv scope:SCOPE_SYS
.LBB6_609:                              ;   in Loop: Header=BB6_566 Depth=3
	s_or_b32 exec_lo, exec_lo, s10
	v_and_b32_e32 v9, 32, v82
	s_mov_b32 s10, exec_lo
	s_delay_alu instid0(VALU_DEP_1)
	v_cmpx_ne_u32_e32 0, v9
	s_cbranch_execz .LBB6_565
; %bb.610:                              ;   in Loop: Header=BB6_566 Depth=3
	v_add_nc_u64_e32 v[84:85], 2, v[84:85]
	global_wb scope:SCOPE_SYS
	s_wait_loadcnt 0x0
	s_wait_storecnt 0x0
	flat_store_b64 v[18:19], v[84:85] scope:SCOPE_SYS
	s_branch .LBB6_565
.LBB6_611:                              ;   in Loop: Header=BB6_53 Depth=1
	s_or_b32 exec_lo, exec_lo, s25
.LBB6_612:                              ;   in Loop: Header=BB6_53 Depth=1
	s_delay_alu instid0(SALU_CYCLE_1)
	s_or_b32 exec_lo, exec_lo, s24
.LBB6_613:                              ;   in Loop: Header=BB6_53 Depth=1
	s_delay_alu instid0(SALU_CYCLE_1)
	s_or_b32 exec_lo, exec_lo, s12
	s_add_co_i32 s10, s23, 1
	s_add_co_i32 s18, s18, 1
	s_cmp_eq_u32 s23, s20
	s_cbranch_scc1 .LBB6_615
; %bb.614:                              ;   in Loop: Header=BB6_53 Depth=1
	s_mov_b32 s23, s10
	s_branch .LBB6_53
.LBB6_615:
	v_and_b32_e32 v0, 0x800, v82
	s_mov_b32 s1, exec_lo
	s_delay_alu instid0(VALU_DEP_1)
	v_cmpx_eq_u32_e32 0, v0
	s_cbranch_execz .LBB6_648
; %bb.616:
	v_and_b32_e32 v0, 48, v82
	s_mov_b32 s0, exec_lo
	s_delay_alu instid0(VALU_DEP_1)
	v_cmpx_ne_u32_e32 0, v0
	s_cbranch_execz .LBB6_618
; %bb.617:
	flat_store_b64 v[16:17], v[84:85] offset:104
.LBB6_618:
	s_wait_xcnt 0x0
	s_or_b32 exec_lo, exec_lo, s0
	v_and_b32_e32 v0, 0x88, v82
	s_mov_b32 s2, exec_lo
	s_delay_alu instid0(VALU_DEP_1)
	v_cmpx_eq_u32_e32 0x88, v0
	s_cbranch_execz .LBB6_628
; %bb.619:
	v_add_nc_u32_e32 v0, 6, v84
	s_mov_b32 s3, 0
	s_delay_alu instid0(VALU_DEP_1) | instskip(NEXT) | instid1(VALU_DEP_1)
	v_and_b32_e32 v0, 7, v0
	v_mad_nc_u64_u32 v[2:3], v0, 24, v[4:5]
	v_and_b32_e32 v0, 64, v82
	s_delay_alu instid0(VALU_DEP_1)
	v_cmp_eq_u32_e64 s0, 0, v0
	flat_load_b64 v[4:5], v[2:3] offset:8 scope:SCOPE_SYS
	s_wait_loadcnt_dscnt 0x0
	v_cmp_ne_u64_e32 vcc_lo, -1, v[4:5]
	s_and_b32 s0, vcc_lo, s0
	s_wait_xcnt 0x0
	s_and_b32 exec_lo, exec_lo, s0
	s_cbranch_execz .LBB6_628
; %bb.620:
	s_mov_b32 s5, 0
                                        ; implicit-def: $sgpr0
                                        ; implicit-def: $sgpr4
	s_branch .LBB6_623
.LBB6_621:                              ;   in Loop: Header=BB6_623 Depth=1
	flat_load_b64 v[4:5], v[2:3] offset:8 scope:SCOPE_SYS
	s_wait_loadcnt 0x0
	s_and_not1_b32 s4, s4, exec_lo
	s_wait_dscnt 0x0
	v_cmp_eq_u64_e32 vcc_lo, -1, v[4:5]
	s_or_not1_b32 s7, vcc_lo, exec_lo
.LBB6_622:                              ;   in Loop: Header=BB6_623 Depth=1
	s_wait_xcnt 0x0
	s_or_b32 exec_lo, exec_lo, s10
	s_delay_alu instid0(SALU_CYCLE_1) | instskip(NEXT) | instid1(SALU_CYCLE_1)
	s_and_b32 s6, exec_lo, s7
	s_or_b32 s3, s6, s3
	s_and_not1_b32 s0, s0, exec_lo
	s_and_b32 s6, s4, exec_lo
	s_delay_alu instid0(SALU_CYCLE_1)
	s_or_b32 s0, s0, s6
	s_and_not1_b32 exec_lo, exec_lo, s3
	s_cbranch_execz .LBB6_626
.LBB6_623:                              ; =>This Inner Loop Header: Depth=1
	s_cmp_lt_i32 s5, 0x270f
	s_cselect_b32 s6, -1, 0
	s_delay_alu instid0(SALU_CYCLE_1)
	s_and_b32 vcc_lo, exec_lo, s6
	s_cbranch_vccnz .LBB6_625
; %bb.624:                              ;   in Loop: Header=BB6_623 Depth=1
	s_trap 2
	ds_load_b64 v[4:5], v0
	s_and_not1_b32 s6, s6, exec_lo
	s_mov_b32 s5, 0
	s_wait_storecnt_dscnt 0x0
	flat_load_b32 v0, v[4:5] scope:SCOPE_SYS
	s_wait_loadcnt_dscnt 0x0
	global_inv scope:SCOPE_SYS
	v_cmp_eq_u32_e32 vcc_lo, 0, v0
	s_and_b32 s7, vcc_lo, exec_lo
	s_delay_alu instid0(SALU_CYCLE_1)
	s_or_b32 s6, s6, s7
	s_mov_b32 s7, -1
	s_or_b32 s4, s4, exec_lo
	s_wait_xcnt 0x0
	s_and_saveexec_b32 s10, s6
	s_cbranch_execz .LBB6_622
	s_branch .LBB6_621
.LBB6_625:                              ;   in Loop: Header=BB6_623 Depth=1
	s_add_co_i32 s5, s5, 1
                                        ; implicit-def: $vgpr0
	s_mov_b32 s7, -1
	s_or_b32 s4, s4, exec_lo
	s_and_saveexec_b32 s10, s6
	s_cbranch_execz .LBB6_622
	s_branch .LBB6_621
.LBB6_626:
	s_or_b32 exec_lo, exec_lo, s3
	s_and_saveexec_b32 s3, s0
	s_delay_alu instid0(SALU_CYCLE_1)
	s_xor_b32 s3, exec_lo, s3
	s_cbranch_execz .LBB6_628
; %bb.627:
	s_wait_loadcnt 0x0
	s_wait_storecnt 0x0
	ds_store_b32 v0, v0
	s_trap 2
.LBB6_628:
	s_or_b32 exec_lo, exec_lo, s2
	v_and_b32_e32 v0, 0x2000, v82
	s_mov_b32 s0, exec_lo
	s_delay_alu instid0(VALU_DEP_1)
	v_cmpx_ne_u32_e32 0, v0
	s_cbranch_execz .LBB6_630
; %bb.629:
	s_trap 2
	ds_load_b64 v[2:3], v0
	s_wait_dscnt 0x0
	flat_store_b64 v[14:15], v[2:3] offset:16
.LBB6_630:
	s_wait_xcnt 0x0
	s_or_b32 exec_lo, exec_lo, s0
	v_cmp_ne_u32_e32 vcc_lo, 32, v1
	s_and_b32 exec_lo, exec_lo, vcc_lo
	s_cbranch_execz .LBB6_648
; %bb.631:
	s_mov_b32 s0, exec_lo
	v_cmpx_ne_u32_e64 v1, v56
	s_xor_b32 s0, exec_lo, s0
	s_cbranch_execz .LBB6_646
; %bb.632:
	v_and_b32_e32 v0, 31, v31
	s_mov_b32 s2, exec_lo
	s_delay_alu instid0(VALU_DEP_1)
	v_cmpx_eq_u32_e32 0, v0
	s_cbranch_execz .LBB6_645
; %bb.633:
	s_mov_b32 s4, exec_lo
	s_mov_b32 s3, exec_lo
	v_mbcnt_lo_u32_b32 v0, s4, 0
	global_wb scope:SCOPE_DEV
	s_wait_storecnt 0x0
	s_wait_loadcnt_dscnt 0x0
	global_inv scope:SCOPE_DEV
	v_cmpx_eq_u32_e32 0, v0
	s_cbranch_execz .LBB6_635
; %bb.634:
	s_bcnt1_i32_b32 s4, s4
	s_delay_alu instid0(SALU_CYCLE_1)
	v_dual_mov_b32 v3, 0 :: v_dual_mov_b32 v2, s4
	s_wait_loadcnt 0x0
	ds_add_u64 v0, v[2:3]
	s_trap 2
.LBB6_635:
	s_or_b32 exec_lo, exec_lo, s3
	s_trap 2
	ds_load_b64 v[2:3], v0
	s_wait_dscnt 0x0
	v_dual_mov_b32 v1, 0 :: v_dual_lshrrev_b32 v0, 5, v1
	s_mov_b32 s3, exec_lo
	s_delay_alu instid0(VALU_DEP_1) | instskip(NEXT) | instid1(VALU_DEP_1)
	v_add_nc_u64_e32 v[0:1], v[10:11], v[0:1]
	v_cmpx_lt_u64_e64 v[2:3], v[0:1]
	s_cbranch_execz .LBB6_644
; %bb.636:
	s_mov_b32 s4, 0
	s_mov_b32 s7, 0
                                        ; implicit-def: $sgpr5
                                        ; implicit-def: $sgpr6
	s_branch .LBB6_638
.LBB6_637:                              ;   in Loop: Header=BB6_638 Depth=1
	s_or_b32 exec_lo, exec_lo, s11
	s_delay_alu instid0(SALU_CYCLE_1) | instskip(NEXT) | instid1(SALU_CYCLE_1)
	s_and_b32 s10, exec_lo, s12
	s_or_b32 s4, s10, s4
	s_and_not1_b32 s5, s5, exec_lo
	s_and_b32 s10, s6, exec_lo
	s_delay_alu instid0(SALU_CYCLE_1)
	s_or_b32 s5, s5, s10
	s_and_not1_b32 exec_lo, exec_lo, s4
	s_cbranch_execz .LBB6_642
.LBB6_638:                              ; =>This Inner Loop Header: Depth=1
	s_add_co_i32 s7, s7, 1
	s_delay_alu instid0(SALU_CYCLE_1) | instskip(SKIP_1) | instid1(SALU_CYCLE_1)
	s_cmp_lg_u32 s7, 0x2710
	s_cselect_b32 s10, -1, 0
	s_and_b32 vcc_lo, exec_lo, s10
	s_cbranch_vccz .LBB6_640
; %bb.639:                              ;   in Loop: Header=BB6_638 Depth=1
	s_mov_b32 s12, -1
	s_or_b32 s6, s6, exec_lo
	s_and_saveexec_b32 s11, s10
	s_cbranch_execz .LBB6_637
	s_branch .LBB6_641
.LBB6_640:                              ;   in Loop: Header=BB6_638 Depth=1
	s_trap 2
	ds_load_b64 v[2:3], v0
	s_and_not1_b32 s10, s10, exec_lo
	s_mov_b32 s7, 0
	s_wait_loadcnt_dscnt 0x0
	flat_load_b32 v2, v[2:3] scope:SCOPE_SYS
	s_wait_loadcnt_dscnt 0x0
	global_inv scope:SCOPE_SYS
	v_cmp_eq_u32_e32 vcc_lo, 0, v2
	s_and_b32 s11, vcc_lo, exec_lo
	s_delay_alu instid0(SALU_CYCLE_1)
	s_or_b32 s10, s10, s11
	s_mov_b32 s12, -1
	s_or_b32 s6, s6, exec_lo
	s_and_saveexec_b32 s11, s10
	s_cbranch_execz .LBB6_637
.LBB6_641:                              ;   in Loop: Header=BB6_638 Depth=1
	s_sleep 1
	s_trap 2
	ds_load_b64 v[2:3], v0
	s_wait_dscnt 0x0
	s_and_not1_b32 s6, s6, exec_lo
	v_cmp_ge_u64_e32 vcc_lo, v[2:3], v[0:1]
	s_or_not1_b32 s12, vcc_lo, exec_lo
	s_branch .LBB6_637
.LBB6_642:
	s_or_b32 exec_lo, exec_lo, s4
	s_and_saveexec_b32 s4, s5
	s_delay_alu instid0(SALU_CYCLE_1)
	s_xor_b32 s4, exec_lo, s4
	s_cbranch_execz .LBB6_644
; %bb.643:
	v_mov_b32_e32 v0, 1
	ds_store_b32 v0, v0
	s_trap 2
.LBB6_644:
	s_or_b32 exec_lo, exec_lo, s3
	;;#ASMSTART
	s_wakeup
	;;#ASMEND
.LBB6_645:
	s_or_b32 exec_lo, exec_lo, s2
.LBB6_646:
	s_and_not1_saveexec_b32 s0, s0
	s_cbranch_execz .LBB6_648
; %bb.647:
	global_wb scope:SCOPE_DEV
	s_wait_storecnt 0x0
	s_wait_loadcnt_dscnt 0x0
	global_inv scope:SCOPE_DEV
	s_barrier_signal -1
	s_barrier_wait -1
.LBB6_648:
	s_or_b32 exec_lo, exec_lo, s1
.LBB6_649:
	s_and_not1_saveexec_b32 s21, s17
	s_cbranch_execz .LBB6_651
; %bb.650:
	s_get_pc_i64 s[0:1]
	s_add_nc_u64 s[0:1], s[0:1], __PRETTY_FUNCTION__._ZN10PrimitivesIa7FuncSumIaE12FanSymmetricILi1EELi0E11ProtoSimpleILi2ELi2ELi0ELi4ELi0ELi0EELi0ELb0ELi0ELi0ELi0EEC2EiiPKiS8_PKvPvmhhhP15ncclDevWorkCollP14ncclDevWorkP2pii@rel64+4
	s_get_pc_i64 s[2:3]
	s_add_nc_u64 s[2:3], s[2:3], __assert_fail@rel64+4
	v_dual_mov_b32 v0, s0 :: v_dual_mov_b32 v1, s1
	s_swap_pc_i64 s[30:31], s[2:3]
	; divergent unreachable
.LBB6_651:
	s_or_b32 exec_lo, exec_lo, s21
	s_clause 0x2e
	scratch_load_b32 v126, off, s33
	scratch_load_b32 v125, off, s33 offset:4
	scratch_load_b32 v124, off, s33 offset:8
	;; [unrolled: 1-line block ×46, first 2 shown]
	v_readlane_b32 s30, v127, 0
	v_readlane_b32 s31, v127, 1
	s_mov_b32 s32, s33
	s_wait_xcnt 0x0
	s_or_saveexec_b32 s0, -1
	scratch_load_b32 v127, off, s33 offset:188 ; 4-byte Folded Reload
	s_wait_xcnt 0x0
	s_mov_b32 exec_lo, s0
	s_mov_b32 s33, s63
	s_wait_loadcnt_dscnt 0x0
	s_set_pc_i64 s[30:31]
.Lfunc_end6:
	.size	_ZN12_GLOBAL__N_17runRingIa7FuncSumIaE11ProtoSimpleILi2ELi2ELi0ELi4ELi0ELi0EELi0ELi4ELi0EEEviiP15ncclDevWorkColl, .Lfunc_end6-_ZN12_GLOBAL__N_17runRingIa7FuncSumIaE11ProtoSimpleILi2ELi2ELi0ELi4ELi0ELi0EELi0ELi4ELi0EEEviiP15ncclDevWorkColl
                                        ; -- End function
	.set .L_ZN12_GLOBAL__N_17runRingIa7FuncSumIaE11ProtoSimpleILi2ELi2ELi0ELi4ELi0ELi0EELi0ELi4ELi0EEEviiP15ncclDevWorkColl.num_vgpr, max(128, .L__assert_fail.num_vgpr)
	.set .L_ZN12_GLOBAL__N_17runRingIa7FuncSumIaE11ProtoSimpleILi2ELi2ELi0ELi4ELi0ELi0EELi0ELi4ELi0EEEviiP15ncclDevWorkColl.num_agpr, max(0, .L__assert_fail.num_agpr)
	.set .L_ZN12_GLOBAL__N_17runRingIa7FuncSumIaE11ProtoSimpleILi2ELi2ELi0ELi4ELi0ELi0EELi0ELi4ELi0EEEviiP15ncclDevWorkColl.numbered_sgpr, max(64, .L__assert_fail.numbered_sgpr)
	.set .L_ZN12_GLOBAL__N_17runRingIa7FuncSumIaE11ProtoSimpleILi2ELi2ELi0ELi4ELi0ELi0EELi0ELi4ELi0EEEviiP15ncclDevWorkColl.num_named_barrier, max(0, .L__assert_fail.num_named_barrier)
	.set .L_ZN12_GLOBAL__N_17runRingIa7FuncSumIaE11ProtoSimpleILi2ELi2ELi0ELi4ELi0ELi0EELi0ELi4ELi0EEEviiP15ncclDevWorkColl.private_seg_size, 208+max(.L__assert_fail.private_seg_size)
	.set .L_ZN12_GLOBAL__N_17runRingIa7FuncSumIaE11ProtoSimpleILi2ELi2ELi0ELi4ELi0ELi0EELi0ELi4ELi0EEEviiP15ncclDevWorkColl.uses_vcc, or(1, .L__assert_fail.uses_vcc)
	.set .L_ZN12_GLOBAL__N_17runRingIa7FuncSumIaE11ProtoSimpleILi2ELi2ELi0ELi4ELi0ELi0EELi0ELi4ELi0EEEviiP15ncclDevWorkColl.uses_flat_scratch, or(1, .L__assert_fail.uses_flat_scratch)
	.set .L_ZN12_GLOBAL__N_17runRingIa7FuncSumIaE11ProtoSimpleILi2ELi2ELi0ELi4ELi0ELi0EELi0ELi4ELi0EEEviiP15ncclDevWorkColl.has_dyn_sized_stack, or(0, .L__assert_fail.has_dyn_sized_stack)
	.set .L_ZN12_GLOBAL__N_17runRingIa7FuncSumIaE11ProtoSimpleILi2ELi2ELi0ELi4ELi0ELi0EELi0ELi4ELi0EEEviiP15ncclDevWorkColl.has_recursion, or(1, .L__assert_fail.has_recursion)
	.set .L_ZN12_GLOBAL__N_17runRingIa7FuncSumIaE11ProtoSimpleILi2ELi2ELi0ELi4ELi0ELi0EELi0ELi4ELi0EEEviiP15ncclDevWorkColl.has_indirect_call, or(0, .L__assert_fail.has_indirect_call)
	.section	.AMDGPU.csdata,"",@progbits
; Function info:
; codeLenInByte = 28152
; TotalNumSgprs: 66
; NumVgprs: 128
; ScratchSize: 272
; MemoryBound: 0
	.text
	.p2align	2                               ; -- Begin function _Z50ncclDevFunc_AlltoAllPivot_RING_SIMPLE_Sum_i8_0_0_4v
	.type	_Z50ncclDevFunc_AlltoAllPivot_RING_SIMPLE_Sum_i8_0_0_4v,@function
_Z50ncclDevFunc_AlltoAllPivot_RING_SIMPLE_Sum_i8_0_0_4v: ; @_Z50ncclDevFunc_AlltoAllPivot_RING_SIMPLE_Sum_i8_0_0_4v
; %bb.0:
	s_wait_loadcnt_dscnt 0x0
	s_wait_kmcnt 0x0
	s_mov_b32 s79, s33
	s_mov_b32 s33, s32
	s_or_saveexec_b32 s0, -1
	scratch_store_b32 off, v42, s33 offset:12 ; 4-byte Folded Spill
	s_wait_xcnt 0x0
	s_mov_b32 exec_lo, s0
	s_add_co_i32 s32, s32, 32
	s_clause 0x2
	scratch_store_b32 off, v40, s33 offset:8
	; meta instruction
	scratch_store_b32 off, v41, s33 offset:4
	; meta instruction
	scratch_store_b32 off, v127, s33
	v_writelane_b32 v42, s30, 0
	v_writelane_b32 v42, s31, 1
	s_trap 2
	ds_load_b32 v0, v0
	s_wait_xcnt 0x2
	v_mov_b32_e32 v40, v31
	s_wait_dscnt 0x0
	v_cmp_gt_i32_e32 vcc_lo, 1, v0
	s_cbranch_vccnz .LBB7_8
; %bb.1:
	s_wait_xcnt 0x1
	v_and_b32_e32 v41, 0x3ff, v40
	s_mov_b32 s74, s12
	s_mov_b64 s[72:73], s[8:9]
	s_mov_b32 s75, 0
	s_get_pc_i64 s[76:77]
	s_add_nc_u64 s[76:77], s[76:77], _ZN12_GLOBAL__N_17runRingIa7FuncSumIaE11ProtoSimpleILi2ELi2ELi0ELi4ELi0ELi0EELi0ELi4ELi0EEEviiP15ncclDevWorkColl@rel64+4
	s_branch .LBB7_3
.LBB7_2:                                ;   in Loop: Header=BB7_3 Depth=1
	s_or_b32 exec_lo, exec_lo, s78
	s_trap 2
	ds_load_b32 v0, v0
	s_add_co_i32 s75, s75, 1
	s_wait_dscnt 0x0
	v_cmp_lt_i32_e32 vcc_lo, s75, v0
	s_cbranch_vccz .LBB7_8
.LBB7_3:                                ; =>This Inner Loop Header: Depth=1
	s_trap 2
	ds_load_b32 v0, v0
	s_cmp_eq_u32 s75, 0
	s_cbranch_scc1 .LBB7_6
; %bb.4:                                ;   in Loop: Header=BB7_3 Depth=1
	s_trap 2
	s_wait_dscnt 0x0
	ds_load_b32 v1, v0
	s_wait_dscnt 0x0
	v_xor_b32_e32 v1, v1, v0
	s_delay_alu instid0(VALU_DEP_1) | instskip(NEXT) | instid1(VALU_DEP_1)
	v_and_b32_e32 v1, 0xff0000, v1
	v_cmp_eq_u32_e32 vcc_lo, 0, v1
	s_cbranch_vccnz .LBB7_6
; %bb.5:                                ;   in Loop: Header=BB7_3 Depth=1
	s_wait_storecnt 0x0
	s_barrier_signal -1
	s_barrier_wait -1
	ds_load_b32 v0, v0
.LBB7_6:                                ;   in Loop: Header=BB7_3 Depth=1
	s_wait_dscnt 0x0
	v_lshrrev_b32_e32 v0, 11, v0
	s_mov_b32 s78, exec_lo
	s_delay_alu instid0(VALU_DEP_1) | instskip(SKIP_1) | instid1(VALU_DEP_1)
	v_and_b32_e32 v1, 0x1fe0, v0
	s_wait_xcnt 0x0
	v_cmpx_lt_u32_e64 v41, v1
	s_cbranch_execz .LBB7_2
; %bb.7:                                ;   in Loop: Header=BB7_3 Depth=1
	s_mov_b64 s[0:1], src_shared_base
	v_dual_mov_b32 v31, v40 :: v_dual_mov_b32 v0, v41
	v_mov_b32_e32 v3, s1
	s_mov_b64 s[8:9], s[72:73]
	s_mov_b32 s12, s74
	s_swap_pc_i64 s[30:31], s[76:77]
	s_branch .LBB7_2
.LBB7_8:
	s_clause 0x2
	scratch_load_b32 v127, off, s33
	scratch_load_b32 v41, off, s33 offset:4
	scratch_load_b32 v40, off, s33 offset:8
	v_readlane_b32 s30, v42, 0
	v_readlane_b32 s31, v42, 1
	s_mov_b32 s32, s33
	s_wait_xcnt 0x0
	s_or_saveexec_b32 s0, -1
	scratch_load_b32 v42, off, s33 offset:12 ; 4-byte Folded Reload
	s_wait_xcnt 0x0
	s_mov_b32 exec_lo, s0
	s_mov_b32 s33, s79
	s_wait_loadcnt 0x0
	s_set_pc_i64 s[30:31]
.Lfunc_end7:
	.size	_Z50ncclDevFunc_AlltoAllPivot_RING_SIMPLE_Sum_i8_0_0_4v, .Lfunc_end7-_Z50ncclDevFunc_AlltoAllPivot_RING_SIMPLE_Sum_i8_0_0_4v
                                        ; -- End function
	.set .L_Z50ncclDevFunc_AlltoAllPivot_RING_SIMPLE_Sum_i8_0_0_4v.num_vgpr, max(128, .L_ZN12_GLOBAL__N_17runRingIa7FuncSumIaE11ProtoSimpleILi2ELi2ELi0ELi4ELi0ELi0EELi0ELi4ELi0EEEviiP15ncclDevWorkColl.num_vgpr)
	.set .L_Z50ncclDevFunc_AlltoAllPivot_RING_SIMPLE_Sum_i8_0_0_4v.num_agpr, max(0, .L_ZN12_GLOBAL__N_17runRingIa7FuncSumIaE11ProtoSimpleILi2ELi2ELi0ELi4ELi0ELi0EELi0ELi4ELi0EEEviiP15ncclDevWorkColl.num_agpr)
	.set .L_Z50ncclDevFunc_AlltoAllPivot_RING_SIMPLE_Sum_i8_0_0_4v.numbered_sgpr, max(80, .L_ZN12_GLOBAL__N_17runRingIa7FuncSumIaE11ProtoSimpleILi2ELi2ELi0ELi4ELi0ELi0EELi0ELi4ELi0EEEviiP15ncclDevWorkColl.numbered_sgpr)
	.set .L_Z50ncclDevFunc_AlltoAllPivot_RING_SIMPLE_Sum_i8_0_0_4v.num_named_barrier, max(0, .L_ZN12_GLOBAL__N_17runRingIa7FuncSumIaE11ProtoSimpleILi2ELi2ELi0ELi4ELi0ELi0EELi0ELi4ELi0EEEviiP15ncclDevWorkColl.num_named_barrier)
	.set .L_Z50ncclDevFunc_AlltoAllPivot_RING_SIMPLE_Sum_i8_0_0_4v.private_seg_size, 32+max(.L_ZN12_GLOBAL__N_17runRingIa7FuncSumIaE11ProtoSimpleILi2ELi2ELi0ELi4ELi0ELi0EELi0ELi4ELi0EEEviiP15ncclDevWorkColl.private_seg_size)
	.set .L_Z50ncclDevFunc_AlltoAllPivot_RING_SIMPLE_Sum_i8_0_0_4v.uses_vcc, or(1, .L_ZN12_GLOBAL__N_17runRingIa7FuncSumIaE11ProtoSimpleILi2ELi2ELi0ELi4ELi0ELi0EELi0ELi4ELi0EEEviiP15ncclDevWorkColl.uses_vcc)
	.set .L_Z50ncclDevFunc_AlltoAllPivot_RING_SIMPLE_Sum_i8_0_0_4v.uses_flat_scratch, or(1, .L_ZN12_GLOBAL__N_17runRingIa7FuncSumIaE11ProtoSimpleILi2ELi2ELi0ELi4ELi0ELi0EELi0ELi4ELi0EEEviiP15ncclDevWorkColl.uses_flat_scratch)
	.set .L_Z50ncclDevFunc_AlltoAllPivot_RING_SIMPLE_Sum_i8_0_0_4v.has_dyn_sized_stack, or(0, .L_ZN12_GLOBAL__N_17runRingIa7FuncSumIaE11ProtoSimpleILi2ELi2ELi0ELi4ELi0ELi0EELi0ELi4ELi0EEEviiP15ncclDevWorkColl.has_dyn_sized_stack)
	.set .L_Z50ncclDevFunc_AlltoAllPivot_RING_SIMPLE_Sum_i8_0_0_4v.has_recursion, or(1, .L_ZN12_GLOBAL__N_17runRingIa7FuncSumIaE11ProtoSimpleILi2ELi2ELi0ELi4ELi0ELi0EELi0ELi4ELi0EEEviiP15ncclDevWorkColl.has_recursion)
	.set .L_Z50ncclDevFunc_AlltoAllPivot_RING_SIMPLE_Sum_i8_0_0_4v.has_indirect_call, or(0, .L_ZN12_GLOBAL__N_17runRingIa7FuncSumIaE11ProtoSimpleILi2ELi2ELi0ELi4ELi0ELi0EELi0ELi4ELi0EEEviiP15ncclDevWorkColl.has_indirect_call)
	.section	.AMDGPU.csdata,"",@progbits
; Function info:
; codeLenInByte = 464
; TotalNumSgprs: 82
; NumVgprs: 128
; ScratchSize: 304
; MemoryBound: 0
	.text
	.p2alignl 7, 3214868480
	.fill 96, 4, 3214868480
	.section	.AMDGPU.gpr_maximums,"",@progbits
	.set amdgpu.max_num_vgpr, 128
	.set amdgpu.max_num_agpr, 0
	.set amdgpu.max_num_sgpr, 80
	.text
	.type	__const.__assert_fail.fmt,@object ; @__const.__assert_fail.fmt
	.section	.rodata.str1.16,"aMS",@progbits,1
	.p2align	4, 0x0
__const.__assert_fail.fmt:
	.asciz	"%s:%u: %s: Device-side assertion `%s' failed.\n"
	.size	__const.__assert_fail.fmt, 47

	.type	.str.3,@object                  ; @.str.3
	.section	.rodata.str1.1,"aMS",@progbits,1
.str.3:
	.asciz	"2*(nrecv+nsend) <= nthreads"
	.size	.str.3, 28

	.type	.str.4,@object                  ; @.str.4
.str.4:
	.asciz	"/root/src/amdgpu-assembly/repos/ROCm__rccl/hipify/src/device/prims_simple.h"
	.size	.str.4, 76

	.type	__PRETTY_FUNCTION__._ZN10PrimitivesIa7FuncSumIaE12FanSymmetricILi1EELi0E11ProtoSimpleILi2ELi2ELi0ELi1ELi0ELi0EELi0ELb0ELi0ELi0ELi0EEC2EiiPKiS8_PKvPvmhhhP15ncclDevWorkCollP14ncclDevWorkP2pii,@object ; @__PRETTY_FUNCTION__._ZN10PrimitivesIa7FuncSumIaE12FanSymmetricILi1EELi0E11ProtoSimpleILi2ELi2ELi0ELi1ELi0ELi0EELi0ELb0ELi0ELi0ELi0EEC2EiiPKiS8_PKvPvmhhhP15ncclDevWorkCollP14ncclDevWorkP2pii
__PRETTY_FUNCTION__._ZN10PrimitivesIa7FuncSumIaE12FanSymmetricILi1EELi0E11ProtoSimpleILi2ELi2ELi0ELi1ELi0ELi0EELi0ELb0ELi0ELi0ELi0EEC2EiiPKiS8_PKvPvmhhhP15ncclDevWorkCollP14ncclDevWorkP2pii:
	.asciz	"Primitives<signed char, FuncSum<signed char>, FanSymmetric<1>, 0, ProtoSimple<2, 2, 0, 1>, 0>::Primitives(int, int, const int *, const int *, const void *, void *, uint64_t, uint8_t, uint8_t, uint8_t, struct ncclDevWorkColl *, struct ncclDevWorkP2p *, int, int) [T = signed char, RedOp = FuncSum<signed char>, Fan = FanSymmetric<1>, Direct = 0, Proto = ProtoSimple<2, 2, 0, 1>, P2p = 0, isNetOffload = false, Metadata = 0, Pipeline = 0, useAcc = 0]"
	.size	__PRETTY_FUNCTION__._ZN10PrimitivesIa7FuncSumIaE12FanSymmetricILi1EELi0E11ProtoSimpleILi2ELi2ELi0ELi1ELi0ELi0EELi0ELb0ELi0ELi0ELi0EEC2EiiPKiS8_PKvPvmhhhP15ncclDevWorkCollP14ncclDevWorkP2pii, 449

	.type	__PRETTY_FUNCTION__._ZN10PrimitivesIa7FuncSumIaE12FanSymmetricILi1EELi0E11ProtoSimpleILi2ELi2ELi0ELi2ELi0ELi0EELi0ELb0ELi0ELi0ELi0EEC2EiiPKiS8_PKvPvmhhhP15ncclDevWorkCollP14ncclDevWorkP2pii,@object ; @__PRETTY_FUNCTION__._ZN10PrimitivesIa7FuncSumIaE12FanSymmetricILi1EELi0E11ProtoSimpleILi2ELi2ELi0ELi2ELi0ELi0EELi0ELb0ELi0ELi0ELi0EEC2EiiPKiS8_PKvPvmhhhP15ncclDevWorkCollP14ncclDevWorkP2pii
__PRETTY_FUNCTION__._ZN10PrimitivesIa7FuncSumIaE12FanSymmetricILi1EELi0E11ProtoSimpleILi2ELi2ELi0ELi2ELi0ELi0EELi0ELb0ELi0ELi0ELi0EEC2EiiPKiS8_PKvPvmhhhP15ncclDevWorkCollP14ncclDevWorkP2pii:
	.asciz	"Primitives<signed char, FuncSum<signed char>, FanSymmetric<1>, 0, ProtoSimple<2, 2, 0, 2>, 0>::Primitives(int, int, const int *, const int *, const void *, void *, uint64_t, uint8_t, uint8_t, uint8_t, struct ncclDevWorkColl *, struct ncclDevWorkP2p *, int, int) [T = signed char, RedOp = FuncSum<signed char>, Fan = FanSymmetric<1>, Direct = 0, Proto = ProtoSimple<2, 2, 0, 2>, P2p = 0, isNetOffload = false, Metadata = 0, Pipeline = 0, useAcc = 0]"
	.size	__PRETTY_FUNCTION__._ZN10PrimitivesIa7FuncSumIaE12FanSymmetricILi1EELi0E11ProtoSimpleILi2ELi2ELi0ELi2ELi0ELi0EELi0ELb0ELi0ELi0ELi0EEC2EiiPKiS8_PKvPvmhhhP15ncclDevWorkCollP14ncclDevWorkP2pii, 449

	.type	__PRETTY_FUNCTION__._ZN10PrimitivesIa7FuncSumIaE12FanSymmetricILi1EELi0E11ProtoSimpleILi2ELi2ELi0ELi4ELi0ELi0EELi0ELb0ELi0ELi0ELi0EEC2EiiPKiS8_PKvPvmhhhP15ncclDevWorkCollP14ncclDevWorkP2pii,@object ; @__PRETTY_FUNCTION__._ZN10PrimitivesIa7FuncSumIaE12FanSymmetricILi1EELi0E11ProtoSimpleILi2ELi2ELi0ELi4ELi0ELi0EELi0ELb0ELi0ELi0ELi0EEC2EiiPKiS8_PKvPvmhhhP15ncclDevWorkCollP14ncclDevWorkP2pii
__PRETTY_FUNCTION__._ZN10PrimitivesIa7FuncSumIaE12FanSymmetricILi1EELi0E11ProtoSimpleILi2ELi2ELi0ELi4ELi0ELi0EELi0ELb0ELi0ELi0ELi0EEC2EiiPKiS8_PKvPvmhhhP15ncclDevWorkCollP14ncclDevWorkP2pii:
	.asciz	"Primitives<signed char, FuncSum<signed char>, FanSymmetric<1>, 0, ProtoSimple<2, 2, 0, 4>, 0>::Primitives(int, int, const int *, const int *, const void *, void *, uint64_t, uint8_t, uint8_t, uint8_t, struct ncclDevWorkColl *, struct ncclDevWorkP2p *, int, int) [T = signed char, RedOp = FuncSum<signed char>, Fan = FanSymmetric<1>, Direct = 0, Proto = ProtoSimple<2, 2, 0, 4>, P2p = 0, isNetOffload = false, Metadata = 0, Pipeline = 0, useAcc = 0]"
	.size	__PRETTY_FUNCTION__._ZN10PrimitivesIa7FuncSumIaE12FanSymmetricILi1EELi0E11ProtoSimpleILi2ELi2ELi0ELi4ELi0ELi0EELi0ELb0ELi0ELi0ELi0EEC2EiiPKiS8_PKvPvmhhhP15ncclDevWorkCollP14ncclDevWorkP2pii, 449

	.type	__hip_cuid_bac0ea744dba8bc9,@object ; @__hip_cuid_bac0ea744dba8bc9
	.section	.bss,"aw",@nobits
	.globl	__hip_cuid_bac0ea744dba8bc9
__hip_cuid_bac0ea744dba8bc9:
	.byte	0                               ; 0x0
	.size	__hip_cuid_bac0ea744dba8bc9, 1

	.ident	"AMD clang version 22.0.0git (https://github.com/RadeonOpenCompute/llvm-project roc-7.2.4 26084 f58b06dce1f9c15707c5f808fd002e18c2accf7e)"
	.section	".note.GNU-stack","",@progbits
	.addrsig
	.addrsig_sym _Z50ncclDevFunc_AlltoAllPivot_RING_SIMPLE_Sum_i8_0_0_1v
	.addrsig_sym _Z50ncclDevFunc_AlltoAllPivot_RING_SIMPLE_Sum_i8_0_0_2v
	.addrsig_sym _Z50ncclDevFunc_AlltoAllPivot_RING_SIMPLE_Sum_i8_0_0_4v
	.addrsig_sym ncclShmem
	.addrsig_sym __hip_cuid_bac0ea744dba8bc9
	.amdgpu_metadata
---
amdhsa.kernels:  []
amdhsa.target:   amdgcn-amd-amdhsa--gfx1250
amdhsa.version:
  - 1
  - 2
...

	.end_amdgpu_metadata
